;; amdgpu-corpus repo=ROCm/rocFFT kind=compiled arch=gfx906 opt=O3
	.text
	.amdgcn_target "amdgcn-amd-amdhsa--gfx906"
	.amdhsa_code_object_version 6
	.protected	bluestein_single_back_len306_dim1_sp_op_CI_CI ; -- Begin function bluestein_single_back_len306_dim1_sp_op_CI_CI
	.globl	bluestein_single_back_len306_dim1_sp_op_CI_CI
	.p2align	8
	.type	bluestein_single_back_len306_dim1_sp_op_CI_CI,@function
bluestein_single_back_len306_dim1_sp_op_CI_CI: ; @bluestein_single_back_len306_dim1_sp_op_CI_CI
; %bb.0:
	s_mov_b64 s[26:27], s[2:3]
	v_mul_u32_u24_e32 v1, 0x788, v0
	s_mov_b64 s[24:25], s[0:1]
	s_load_dwordx4 s[0:3], s[4:5], 0x28
	v_lshrrev_b32_e32 v1, 16, v1
	s_add_u32 s24, s24, s7
	v_mad_u64_u32 v[40:41], s[6:7], s6, 7, v[1:2]
	v_mov_b32_e32 v41, 0
	s_addc_u32 s25, s25, 0
	s_waitcnt lgkmcnt(0)
	v_cmp_gt_u64_e32 vcc, s[0:1], v[40:41]
	s_and_saveexec_b64 s[0:1], vcc
	s_cbranch_execz .LBB0_23
; %bb.1:
	s_mov_b32 s0, 0x24924925
	v_mul_hi_u32 v2, v40, s0
	s_load_dwordx2 s[12:13], s[4:5], 0x0
	s_load_dwordx2 s[14:15], s[4:5], 0x38
	v_mul_lo_u16_e32 v1, 34, v1
	v_sub_u16_e32 v73, v0, v1
	v_sub_u32_e32 v3, v40, v2
	v_lshrrev_b32_e32 v3, 1, v3
	v_add_u32_e32 v2, v3, v2
	v_lshrrev_b32_e32 v2, 2, v2
	v_mul_lo_u32 v2, v2, 7
	v_cmp_gt_u16_e64 s[0:1], 18, v73
	v_lshlrev_b32_e32 v74, 3, v73
	v_sub_u32_e32 v0, v40, v2
	v_mul_u32_u24_e32 v61, 0x132, v0
	v_lshlrev_b32_e32 v75, 3, v61
	s_and_saveexec_b64 s[6:7], s[0:1]
	s_cbranch_execz .LBB0_3
; %bb.2:
	s_load_dwordx2 s[8:9], s[4:5], 0x18
	v_or_b32_e32 v64, 0x120, v73
	s_waitcnt lgkmcnt(0)
	s_load_dwordx4 s[8:11], s[8:9], 0x0
	s_waitcnt lgkmcnt(0)
	v_mad_u64_u32 v[0:1], s[16:17], s10, v40, 0
	v_mad_u64_u32 v[2:3], s[16:17], s8, v73, 0
	;; [unrolled: 1-line block ×5, first 2 shown]
	v_mov_b32_e32 v1, v4
	v_lshlrev_b64 v[0:1], 3, v[0:1]
	v_mov_b32_e32 v3, v5
	v_mov_b32_e32 v6, s3
	v_lshlrev_b64 v[2:3], 3, v[2:3]
	v_add_co_u32_e32 v71, vcc, s2, v0
	v_addc_co_u32_e32 v72, vcc, v6, v1, vcc
	v_add_co_u32_e32 v0, vcc, v71, v2
	s_mul_i32 s2, s9, 0x90
	s_mul_hi_u32 s3, s8, 0x90
	v_addc_co_u32_e32 v1, vcc, v72, v3, vcc
	s_add_i32 s3, s3, s2
	s_mul_i32 s2, s8, 0x90
	v_mov_b32_e32 v3, s3
	v_add_co_u32_e32 v2, vcc, s2, v0
	v_addc_co_u32_e32 v3, vcc, v1, v3, vcc
	v_mov_b32_e32 v5, s3
	v_add_co_u32_e32 v4, vcc, s2, v2
	v_addc_co_u32_e32 v5, vcc, v3, v5, vcc
	;; [unrolled: 3-line block ×3, first 2 shown]
	global_load_dwordx2 v[8:9], v[0:1], off
	global_load_dwordx2 v[10:11], v[2:3], off
	;; [unrolled: 1-line block ×4, first 2 shown]
	global_load_dwordx2 v[16:17], v74, s[12:13]
	global_load_dwordx2 v[18:19], v74, s[12:13] offset:144
	global_load_dwordx2 v[20:21], v74, s[12:13] offset:288
	;; [unrolled: 1-line block ×3, first 2 shown]
	v_mov_b32_e32 v1, s3
	v_add_co_u32_e32 v0, vcc, s2, v6
	v_addc_co_u32_e32 v1, vcc, v7, v1, vcc
	global_load_dwordx2 v[2:3], v[0:1], off
	v_mov_b32_e32 v4, s3
	v_add_co_u32_e32 v0, vcc, s2, v0
	v_addc_co_u32_e32 v1, vcc, v1, v4, vcc
	global_load_dwordx2 v[4:5], v[0:1], off
	v_mov_b32_e32 v6, s3
	v_add_co_u32_e32 v0, vcc, s2, v0
	v_addc_co_u32_e32 v1, vcc, v1, v6, vcc
	global_load_dwordx2 v[6:7], v[0:1], off
	v_mov_b32_e32 v24, s3
	v_add_co_u32_e32 v0, vcc, s2, v0
	v_addc_co_u32_e32 v1, vcc, v1, v24, vcc
	global_load_dwordx2 v[24:25], v[0:1], off
	global_load_dwordx2 v[26:27], v74, s[12:13] offset:576
	global_load_dwordx2 v[28:29], v74, s[12:13] offset:720
	;; [unrolled: 1-line block ×4, first 2 shown]
	v_mov_b32_e32 v34, s3
	v_add_co_u32_e32 v0, vcc, s2, v0
	v_addc_co_u32_e32 v1, vcc, v1, v34, vcc
	global_load_dwordx2 v[34:35], v[0:1], off
	v_mov_b32_e32 v36, s3
	v_add_co_u32_e32 v0, vcc, s2, v0
	v_addc_co_u32_e32 v1, vcc, v1, v36, vcc
	global_load_dwordx2 v[36:37], v[0:1], off
	;; [unrolled: 4-line block ×4, first 2 shown]
	global_load_dwordx2 v[43:44], v74, s[12:13] offset:1152
	global_load_dwordx2 v[45:46], v74, s[12:13] offset:1296
	global_load_dwordx2 v[47:48], v74, s[12:13] offset:1440
	global_load_dwordx2 v[49:50], v74, s[12:13] offset:1584
	v_mov_b32_e32 v51, s3
	v_add_co_u32_e32 v0, vcc, s2, v0
	v_addc_co_u32_e32 v1, vcc, v1, v51, vcc
	global_load_dwordx2 v[51:52], v[0:1], off
	global_load_dwordx2 v[53:54], v74, s[12:13] offset:1728
	v_mov_b32_e32 v55, s3
	v_add_co_u32_e32 v0, vcc, s2, v0
	v_addc_co_u32_e32 v1, vcc, v1, v55, vcc
	global_load_dwordx2 v[55:56], v[0:1], off
	v_mov_b32_e32 v57, s3
	v_add_co_u32_e32 v0, vcc, s2, v0
	v_addc_co_u32_e32 v1, vcc, v1, v57, vcc
	global_load_dwordx2 v[57:58], v[0:1], off
	v_mov_b32_e32 v62, s3
	v_add_co_u32_e32 v0, vcc, s2, v0
	v_mad_u64_u32 v[64:65], s[2:3], s9, v64, v[60:61]
	v_addc_co_u32_e32 v1, vcc, v1, v62, vcc
	v_mov_b32_e32 v60, v64
	global_load_dwordx2 v[62:63], v74, s[12:13] offset:1872
	global_load_dwordx2 v[65:66], v[0:1], off
	global_load_dwordx2 v[67:68], v74, s[12:13] offset:2016
	global_load_dwordx2 v[69:70], v74, s[12:13] offset:2160
	v_lshlrev_b64 v[0:1], 3, v[59:60]
	v_lshl_add_u32 v64, v73, 3, v75
	v_add_co_u32_e32 v0, vcc, v71, v0
	v_addc_co_u32_e32 v1, vcc, v72, v1, vcc
	global_load_dwordx2 v[59:60], v[0:1], off
	global_load_dwordx2 v[71:72], v74, s[12:13] offset:2304
	s_waitcnt vmcnt(29)
	v_mul_f32_e32 v0, v9, v17
	v_mul_f32_e32 v1, v8, v17
	v_fmac_f32_e32 v0, v8, v16
	v_fma_f32 v1, v9, v16, -v1
	ds_write_b64 v64, v[0:1]
	s_waitcnt vmcnt(28)
	v_mul_f32_e32 v0, v11, v19
	v_mul_f32_e32 v1, v10, v19
	s_waitcnt vmcnt(27)
	v_mul_f32_e32 v8, v13, v21
	v_mul_f32_e32 v9, v12, v21
	v_fmac_f32_e32 v0, v10, v18
	v_add_u32_e32 v16, v75, v74
	v_fma_f32 v1, v11, v18, -v1
	v_fmac_f32_e32 v8, v12, v20
	v_fma_f32 v9, v13, v20, -v9
	ds_write2_b64 v16, v[0:1], v[8:9] offset0:18 offset1:36
	s_waitcnt vmcnt(26)
	v_mul_f32_e32 v0, v15, v23
	v_mul_f32_e32 v1, v14, v23
	s_waitcnt vmcnt(21)
	v_mul_f32_e32 v8, v3, v27
	v_fmac_f32_e32 v8, v2, v26
	v_mul_f32_e32 v2, v2, v27
	v_fmac_f32_e32 v0, v14, v22
	v_fma_f32 v1, v15, v22, -v1
	v_fma_f32 v9, v3, v26, -v2
	ds_write2_b64 v16, v[0:1], v[8:9] offset0:54 offset1:72
	s_waitcnt vmcnt(20)
	v_mul_f32_e32 v0, v5, v29
	v_mul_f32_e32 v1, v4, v29
	s_waitcnt vmcnt(19)
	v_mul_f32_e32 v2, v7, v31
	v_mul_f32_e32 v3, v6, v31
	v_fmac_f32_e32 v0, v4, v28
	v_fma_f32 v1, v5, v28, -v1
	v_fmac_f32_e32 v2, v6, v30
	v_fma_f32 v3, v7, v30, -v3
	ds_write2_b64 v16, v[0:1], v[2:3] offset0:90 offset1:108
	s_waitcnt vmcnt(18)
	v_mul_f32_e32 v0, v25, v33
	v_mul_f32_e32 v1, v24, v33
	v_fmac_f32_e32 v0, v24, v32
	v_fma_f32 v1, v25, v32, -v1
	v_add_u32_e32 v4, 0x800, v16
	s_waitcnt vmcnt(13)
	v_mul_f32_e32 v2, v35, v44
	v_mul_f32_e32 v3, v34, v44
	v_fmac_f32_e32 v2, v34, v43
	v_fma_f32 v3, v35, v43, -v3
	ds_write2_b64 v16, v[0:1], v[2:3] offset0:126 offset1:144
	s_waitcnt vmcnt(12)
	v_mul_f32_e32 v0, v37, v46
	v_mul_f32_e32 v1, v36, v46
	s_waitcnt vmcnt(11)
	v_mul_f32_e32 v2, v39, v48
	v_mul_f32_e32 v3, v38, v48
	v_fmac_f32_e32 v0, v36, v45
	v_fma_f32 v1, v37, v45, -v1
	v_fmac_f32_e32 v2, v38, v47
	v_fma_f32 v3, v39, v47, -v3
	ds_write2_b64 v16, v[0:1], v[2:3] offset0:162 offset1:180
	s_waitcnt vmcnt(10)
	v_mul_f32_e32 v0, v42, v50
	v_mul_f32_e32 v1, v41, v50
	s_waitcnt vmcnt(8)
	v_mul_f32_e32 v2, v52, v54
	v_mul_f32_e32 v3, v51, v54
	v_fmac_f32_e32 v0, v41, v49
	v_fma_f32 v1, v42, v49, -v1
	;; [unrolled: 11-line block ×4, first 2 shown]
	v_fmac_f32_e32 v2, v59, v71
	v_fma_f32 v3, v60, v71, -v3
	ds_write2_b64 v4, v[0:1], v[2:3] offset0:14 offset1:32
.LBB0_3:
	s_or_b64 exec, exec, s[6:7]
	v_mov_b32_e32 v4, 0
	v_mov_b32_e32 v5, 0
	s_waitcnt lgkmcnt(0)
	s_barrier
	s_waitcnt lgkmcnt(0)
                                        ; implicit-def: $vgpr10
                                        ; implicit-def: $vgpr12
                                        ; implicit-def: $vgpr28
                                        ; implicit-def: $vgpr32
                                        ; implicit-def: $vgpr51
                                        ; implicit-def: $vgpr26
                                        ; implicit-def: $vgpr22
                                        ; implicit-def: $vgpr18
	s_and_saveexec_b64 s[2:3], s[0:1]
	s_cbranch_execz .LBB0_5
; %bb.4:
	v_lshl_add_u32 v0, v61, 3, v74
	ds_read2_b64 v[4:7], v0 offset1:18
	ds_read2_b64 v[16:19], v0 offset0:36 offset1:54
	ds_read2_b64 v[20:23], v0 offset0:72 offset1:90
	;; [unrolled: 1-line block ×6, first 2 shown]
	v_add_u32_e32 v1, 0x400, v0
	ds_read2_b64 v[32:35], v1 offset0:124 offset1:142
	ds_read_b64 v[51:52], v0 offset:2304
.LBB0_5:
	s_or_b64 exec, exec, s[2:3]
	s_waitcnt lgkmcnt(0)
	v_sub_f32_e32 v37, v7, v52
	v_mul_f32_e32 v53, 0xbeb8f4ab, v37
	v_sub_f32_e32 v39, v17, v35
	v_add_f32_e32 v66, v51, v6
	v_sub_f32_e32 v36, v6, v51
	v_mov_b32_e32 v0, v53
	v_mul_f32_e32 v55, 0xbf2c7751, v39
	v_add_f32_e32 v67, v52, v7
	s_mov_b32 s2, 0x3f6eb680
	v_mul_f32_e32 v54, 0xbeb8f4ab, v36
	v_fmac_f32_e32 v0, 0x3f6eb680, v66
	v_add_f32_e32 v69, v34, v16
	v_sub_f32_e32 v38, v16, v34
	v_mov_b32_e32 v2, v55
	v_add_f32_e32 v0, v0, v4
	v_fma_f32 v1, v67, s2, -v54
	s_mov_b32 s3, 0x3f3d2fb0
	v_add_f32_e32 v70, v35, v17
	v_mul_f32_e32 v56, 0xbf2c7751, v38
	v_fmac_f32_e32 v2, 0x3f3d2fb0, v69
	v_sub_f32_e32 v102, v19, v33
	v_add_f32_e32 v1, v1, v5
	v_add_f32_e32 v0, v2, v0
	v_fma_f32 v2, v70, s3, -v56
	v_mul_f32_e32 v57, 0xbf65296c, v102
	v_add_f32_e32 v1, v2, v1
	v_add_f32_e32 v77, v32, v18
	v_sub_f32_e32 v76, v18, v32
	v_mov_b32_e32 v2, v57
	s_mov_b32 s6, 0x3ee437d1
	v_add_f32_e32 v78, v33, v19
	v_mul_f32_e32 v58, 0xbf65296c, v76
	v_fmac_f32_e32 v2, 0x3ee437d1, v77
	v_sub_f32_e32 v121, v21, v31
	v_add_f32_e32 v0, v2, v0
	v_fma_f32 v2, v78, s6, -v58
	v_mul_f32_e32 v59, 0xbf7ee86f, v121
	v_add_f32_e32 v1, v2, v1
	v_add_f32_e32 v80, v30, v20
	v_sub_f32_e32 v118, v20, v30
	v_mov_b32_e32 v2, v59
	s_mov_b32 s7, 0x3dbcf732
	v_add_f32_e32 v81, v31, v21
	v_mul_f32_e32 v60, 0xbf7ee86f, v118
	v_fmac_f32_e32 v2, 0x3dbcf732, v80
	v_sub_f32_e32 v130, v23, v29
	;; [unrolled: 12-line block ×5, first 2 shown]
	v_add_f32_e32 v0, v2, v0
	v_fma_f32 v2, v106, s10, -v71
	v_mul_f32_e32 v72, 0xbe3c28d5, v195
	v_add_f32_e32 v1, v2, v1
	v_add_f32_e32 v119, v10, v8
	v_mov_b32_e32 v2, v72
	v_sub_f32_e32 v196, v8, v10
	s_mov_b32 s11, 0xbf7ba420
	v_fmac_f32_e32 v2, 0xbf7ba420, v119
	v_add_f32_e32 v123, v11, v9
	v_mul_f32_e32 v79, 0xbe3c28d5, v196
	v_mul_f32_e32 v82, 0xbf2c7751, v37
	v_fma_f32 v3, v123, s11, -v79
	v_add_f32_e32 v2, v2, v0
	v_mov_b32_e32 v0, v82
	v_mul_f32_e32 v83, 0xbf7ee86f, v39
	v_add_f32_e32 v3, v3, v1
	v_fmac_f32_e32 v0, 0x3f3d2fb0, v66
	v_mov_b32_e32 v1, v83
	v_add_f32_e32 v0, v0, v4
	v_fmac_f32_e32 v1, 0x3dbcf732, v69
	v_mul_f32_e32 v87, 0xbf2c7751, v36
	v_add_f32_e32 v0, v1, v0
	v_fma_f32 v1, v67, s3, -v87
	v_mul_f32_e32 v88, 0xbf7ee86f, v38
	v_add_f32_e32 v1, v1, v5
	v_fma_f32 v41, v70, s7, -v88
	v_mul_f32_e32 v84, 0xbf4c4adb, v102
	v_add_f32_e32 v1, v41, v1
	v_mov_b32_e32 v41, v84
	v_fmac_f32_e32 v41, 0xbf1a4643, v77
	v_mul_f32_e32 v90, 0xbf4c4adb, v76
	v_add_f32_e32 v0, v41, v0
	v_fma_f32 v41, v78, s9, -v90
	v_mul_f32_e32 v85, 0xbe3c28d5, v121
	v_add_f32_e32 v1, v41, v1
	v_mov_b32_e32 v41, v85
	v_fmac_f32_e32 v41, 0xbf7ba420, v80
	v_mul_f32_e32 v92, 0xbe3c28d5, v118
	v_add_f32_e32 v0, v41, v0
	v_fma_f32 v41, v81, s11, -v92
	v_mul_f32_e32 v86, 0x3f06c442, v130
	v_add_f32_e32 v1, v41, v1
	v_mov_b32_e32 v41, v86
	v_fmac_f32_e32 v41, 0xbf59a7d5, v96
	v_mul_f32_e32 v94, 0x3f06c442, v128
	v_add_f32_e32 v0, v41, v0
	v_fma_f32 v41, v97, s10, -v94
	v_mul_f32_e32 v89, 0x3f763a35, v144
	v_add_f32_e32 v1, v41, v1
	v_mov_b32_e32 v41, v89
	v_fmac_f32_e32 v41, 0xbe8c1d8e, v100
	v_mul_f32_e32 v95, 0x3f763a35, v143
	v_add_f32_e32 v0, v41, v0
	v_fma_f32 v41, v101, s8, -v95
	v_mul_f32_e32 v91, 0x3f65296c, v194
	v_add_f32_e32 v1, v41, v1
	v_mov_b32_e32 v41, v91
	v_fmac_f32_e32 v41, 0x3ee437d1, v105
	v_mul_f32_e32 v98, 0x3f65296c, v193
	v_add_f32_e32 v0, v41, v0
	v_fma_f32 v41, v106, s6, -v98
	v_mul_f32_e32 v93, 0x3eb8f4ab, v195
	v_add_f32_e32 v1, v41, v1
	v_mov_b32_e32 v41, v93
	v_fmac_f32_e32 v41, 0x3f6eb680, v119
	v_mul_f32_e32 v99, 0x3eb8f4ab, v196
	v_add_f32_e32 v0, v41, v0
	v_fma_f32 v41, v123, s2, -v99
	v_mul_f32_e32 v103, 0xbf65296c, v37
	v_add_f32_e32 v1, v41, v1
	v_mov_b32_e32 v41, v103
	v_mul_f32_e32 v104, 0xbf4c4adb, v39
	v_fmac_f32_e32 v41, 0x3ee437d1, v66
	v_mov_b32_e32 v42, v104
	v_add_f32_e32 v41, v41, v4
	v_fmac_f32_e32 v42, 0xbf1a4643, v69
	v_mul_f32_e32 v110, 0xbf65296c, v36
	v_add_f32_e32 v41, v42, v41
	v_fma_f32 v42, v67, s6, -v110
	v_mul_f32_e32 v111, 0xbf4c4adb, v38
	v_add_f32_e32 v42, v42, v5
	v_fma_f32 v43, v70, s9, -v111
	v_mul_f32_e32 v107, 0x3e3c28d5, v102
	v_add_f32_e32 v42, v43, v42
	v_mov_b32_e32 v43, v107
	v_fmac_f32_e32 v43, 0xbf7ba420, v77
	v_mul_f32_e32 v113, 0x3e3c28d5, v76
	v_add_f32_e32 v41, v43, v41
	v_fma_f32 v43, v78, s11, -v113
	v_mul_f32_e32 v108, 0x3f763a35, v121
	v_add_f32_e32 v42, v43, v42
	v_mov_b32_e32 v43, v108
	v_fmac_f32_e32 v43, 0xbe8c1d8e, v80
	v_mul_f32_e32 v115, 0x3f763a35, v118
	v_add_f32_e32 v41, v43, v41
	v_fma_f32 v43, v81, s8, -v115
	v_mul_f32_e32 v109, 0x3f2c7751, v130
	v_add_f32_e32 v42, v43, v42
	v_mov_b32_e32 v43, v109
	v_fmac_f32_e32 v43, 0x3f3d2fb0, v96
	v_mul_f32_e32 v117, 0x3f2c7751, v128
	v_add_f32_e32 v41, v43, v41
	v_fma_f32 v43, v97, s3, -v117
	v_mul_f32_e32 v112, 0xbeb8f4ab, v144
	v_add_f32_e32 v42, v43, v42
	v_mov_b32_e32 v43, v112
	v_fmac_f32_e32 v43, 0x3f6eb680, v100
	v_mul_f32_e32 v120, 0xbeb8f4ab, v143
	v_add_f32_e32 v41, v43, v41
	v_fma_f32 v43, v101, s2, -v120
	v_mul_f32_e32 v114, 0xbf7ee86f, v194
	v_add_f32_e32 v42, v43, v42
	v_mov_b32_e32 v43, v114
	v_fmac_f32_e32 v43, 0x3dbcf732, v105
	v_mul_f32_e32 v122, 0xbf7ee86f, v193
	v_add_f32_e32 v41, v43, v41
	v_fma_f32 v43, v106, s7, -v122
	v_mul_f32_e32 v116, 0xbf06c442, v195
	v_add_f32_e32 v42, v43, v42
	v_mov_b32_e32 v43, v116
	v_fmac_f32_e32 v43, 0xbf59a7d5, v119
	v_mul_f32_e32 v124, 0xbf06c442, v196
	v_add_f32_e32 v41, v43, v41
	v_fma_f32 v43, v123, s10, -v124
	v_mul_f32_e32 v125, 0xbf7ee86f, v37
	v_add_f32_e32 v42, v43, v42
	v_mov_b32_e32 v43, v125
	v_mul_f32_e32 v126, 0xbe3c28d5, v39
	;; [unrolled: 56-line block ×5, first 2 shown]
	v_fmac_f32_e32 v49, 0xbf59a7d5, v66
	v_mov_b32_e32 v50, v178
	v_add_f32_e32 v49, v49, v4
	v_fmac_f32_e32 v50, 0x3ee437d1, v69
	v_mul_f32_e32 v185, 0xbf06c442, v36
	v_add_f32_e32 v49, v50, v49
	v_fma_f32 v50, v67, s10, -v185
	v_mul_f32_e32 v186, 0x3f65296c, v38
	v_add_f32_e32 v50, v50, v5
	v_fma_f32 v179, v70, s6, -v186
	v_add_f32_e32 v50, v179, v50
	v_mul_f32_e32 v179, 0xbf7ee86f, v102
	v_mov_b32_e32 v180, v179
	v_fmac_f32_e32 v180, 0x3dbcf732, v77
	v_mul_f32_e32 v187, 0xbf7ee86f, v76
	v_add_f32_e32 v49, v180, v49
	v_fma_f32 v180, v78, s7, -v187
	v_add_f32_e32 v50, v180, v50
	v_mul_f32_e32 v180, 0x3f4c4adb, v121
	v_mov_b32_e32 v181, v180
	v_fmac_f32_e32 v181, 0xbf1a4643, v80
	;; [unrolled: 7-line block ×6, first 2 shown]
	v_add_f32_e32 v49, v192, v49
	v_mul_f32_e32 v192, 0xbf763a35, v196
	v_fma_f32 v197, v123, s8, -v192
	v_add_f32_e32 v50, v197, v50
	v_mul_f32_e32 v197, 0xbe3c28d5, v37
	v_fma_f32 v37, v66, s11, -v197
	v_mul_f32_e32 v39, 0x3eb8f4ab, v39
	v_add_f32_e32 v37, v37, v4
	v_fma_f32 v198, v69, s2, -v39
	v_add_f32_e32 v37, v198, v37
	v_mul_f32_e32 v198, 0xbe3c28d5, v36
	v_mov_b32_e32 v36, v198
	v_mul_f32_e32 v199, 0x3eb8f4ab, v38
	v_fmac_f32_e32 v36, 0xbf7ba420, v67
	v_mov_b32_e32 v38, v199
	v_add_f32_e32 v36, v36, v5
	v_fmac_f32_e32 v38, 0x3f6eb680, v70
	v_add_f32_e32 v36, v38, v36
	v_mul_f32_e32 v38, 0xbf06c442, v102
	v_fma_f32 v102, v77, s10, -v38
	v_mul_f32_e32 v76, 0xbf06c442, v76
	v_add_f32_e32 v37, v102, v37
	v_mov_b32_e32 v102, v76
	v_fmac_f32_e32 v102, 0xbf59a7d5, v78
	v_add_f32_e32 v36, v102, v36
	v_mul_f32_e32 v102, 0x3f2c7751, v121
	v_fma_f32 v121, v80, s3, -v102
	v_mul_f32_e32 v118, 0x3f2c7751, v118
	v_add_f32_e32 v37, v121, v37
	v_mov_b32_e32 v121, v118
	;; [unrolled: 7-line block ×5, first 2 shown]
	v_mul_f32_e32 v196, 0x3f7ee86f, v196
	v_fmac_f32_e32 v194, 0xbe8c1d8e, v106
	v_mul_f32_e32 v195, 0x3f7ee86f, v195
	v_mov_b32_e32 v200, v196
	v_add_f32_e32 v194, v194, v36
	v_fmac_f32_e32 v200, 0x3dbcf732, v123
	v_fma_f32 v36, v119, s7, -v195
	v_fmac_f32_e32 v197, 0xbf7ba420, v66
	v_add_f32_e32 v36, v36, v37
	v_add_f32_e32 v37, v200, v194
	;; [unrolled: 1-line block ×3, first 2 shown]
	v_fmac_f32_e32 v39, 0x3f6eb680, v69
	v_add_f32_e32 v39, v39, v194
	v_fmac_f32_e32 v38, 0xbf59a7d5, v77
	v_add_f32_e32 v38, v38, v39
	v_fmac_f32_e32 v102, 0x3f3d2fb0, v80
	v_fma_f32 v39, v67, s11, -v198
	v_add_f32_e32 v38, v102, v38
	v_add_f32_e32 v39, v39, v5
	v_fma_f32 v102, v70, s2, -v199
	v_add_f32_e32 v39, v102, v39
	v_fma_f32 v76, v78, s10, -v76
	;; [unrolled: 2-line block ×6, first 2 shown]
	v_fmac_f32_e32 v121, 0xbf1a4643, v96
	v_add_f32_e32 v39, v76, v39
	v_fma_f32 v76, v123, s7, -v196
	s_load_dwordx2 s[6:7], s[4:5], 0x20
	s_load_dwordx2 s[8:9], s[4:5], 0x8
	v_add_f32_e32 v38, v121, v38
	v_fmac_f32_e32 v130, 0x3ee437d1, v100
	v_add_f32_e32 v38, v130, v38
	v_fmac_f32_e32 v144, 0xbe8c1d8e, v105
	v_add_f32_e32 v38, v144, v38
	v_fmac_f32_e32 v195, 0x3dbcf732, v119
	v_add_f32_e32 v38, v195, v38
	v_add_f32_e32 v39, v76, v39
	v_mul_lo_u16_e32 v218, 17, v73
	s_waitcnt lgkmcnt(0)
	s_barrier
	s_and_saveexec_b64 s[2:3], s[0:1]
	s_cbranch_execz .LBB0_7
; %bb.6:
	v_mul_f32_e32 v118, 0x3f6eb680, v67
	v_mul_f32_e32 v128, 0x3f3d2fb0, v67
	;; [unrolled: 1-line block ×14, first 2 shown]
	v_add_f32_e32 v67, v185, v67
	v_mul_f32_e32 v76, 0x3f6eb680, v66
	v_mul_f32_e32 v121, 0x3f3d2fb0, v66
	;; [unrolled: 1-line block ×14, first 2 shown]
	v_add_f32_e32 v70, v186, v70
	v_add_f32_e32 v67, v67, v5
	v_mul_f32_e32 v198, 0x3f3d2fb0, v69
	v_mul_f32_e32 v200, 0x3dbcf732, v69
	;; [unrolled: 1-line block ×14, first 2 shown]
	v_add_f32_e32 v67, v70, v67
	v_add_f32_e32 v70, v187, v78
	v_sub_f32_e32 v66, v66, v177
	v_mul_f32_e32 v210, 0x3ee437d1, v77
	v_mul_f32_e32 v212, 0xbf1a4643, v77
	;; [unrolled: 1-line block ×4, first 2 shown]
	v_mov_b32_e32 v102, v68
	v_mov_b32_e32 v68, v64
	;; [unrolled: 1-line block ×7, first 2 shown]
	v_mul_f32_e32 v53, 0x3f3d2fb0, v77
	v_mul_f32_e32 v220, 0x3f6eb680, v77
	;; [unrolled: 1-line block ×10, first 2 shown]
	v_add_f32_e32 v67, v70, v67
	v_add_f32_e32 v70, v188, v81
	v_sub_f32_e32 v69, v69, v178
	v_add_f32_e32 v66, v66, v4
	v_mul_f32_e32 v222, 0x3dbcf732, v80
	v_mul_f32_e32 v224, 0xbf7ba420, v80
	;; [unrolled: 1-line block ×14, first 2 shown]
	v_add_f32_e32 v67, v70, v67
	v_add_f32_e32 v70, v189, v97
	;; [unrolled: 1-line block ×3, first 2 shown]
	v_sub_f32_e32 v77, v77, v179
	v_mul_f32_e32 v234, 0xbe8c1d8e, v96
	v_mul_f32_e32 v236, 0xbf59a7d5, v96
	;; [unrolled: 1-line block ×7, first 2 shown]
	v_add_f32_e32 v67, v70, v67
	v_add_f32_e32 v70, v190, v101
	;; [unrolled: 1-line block ×3, first 2 shown]
	v_sub_f32_e32 v77, v80, v180
	v_mul_f32_e32 v246, 0xbf1a4643, v100
	v_mul_f32_e32 v248, 0xbe8c1d8e, v100
	;; [unrolled: 1-line block ×7, first 2 shown]
	v_add_f32_e32 v67, v70, v67
	v_mul_f32_e32 v70, 0x3f3d2fb0, v106
	v_add_f32_e32 v66, v77, v66
	v_sub_f32_e32 v77, v96, v181
	buffer_store_dword v76, off, s[24:27], 0 ; 4-byte Folded Spill
	v_mul_f32_e32 v187, 0xbf59a7d5, v105
	v_mul_f32_e32 v255, 0x3ee437d1, v105
	v_mul_f32_e32 v76, 0x3dbcf732, v105
	v_add_f32_e32 v70, v191, v70
	v_mul_f32_e32 v101, 0xbf1a4643, v105
	v_mul_f32_e32 v177, 0x3f6eb680, v105
	;; [unrolled: 1-line block ×4, first 2 shown]
	v_add_f32_e32 v66, v77, v66
	v_sub_f32_e32 v77, v100, v182
	v_add_f32_e32 v67, v70, v67
	v_mul_f32_e32 v70, 0xbe8c1d8e, v123
	v_add_f32_e32 v66, v77, v66
	v_sub_f32_e32 v77, v105, v183
	v_add_f32_e32 v70, v192, v70
	v_add_f32_e32 v66, v77, v66
	v_mul_f32_e32 v77, 0xbe8c1d8e, v119
	v_sub_f32_e32 v77, v77, v184
	v_add_f32_e32 v67, v70, v67
	v_add_f32_e32 v70, v166, v197
	;; [unrolled: 1-line block ×11, first 2 shown]
	v_mul_f32_e32 v188, 0xbf59a7d5, v106
	v_mul_f32_e32 v189, 0x3ee437d1, v106
	;; [unrolled: 1-line block ×6, first 2 shown]
	v_add_f32_e32 v70, v77, v70
	v_add_f32_e32 v77, v174, v78
	v_mul_f32_e32 v190, 0xbf7ba420, v123
	v_mul_f32_e32 v191, 0x3f6eb680, v123
	;; [unrolled: 1-line block ×6, first 2 shown]
	v_add_f32_e32 v70, v77, v70
	v_add_f32_e32 v77, v175, v106
	;; [unrolled: 1-line block ×5, first 2 shown]
	v_sub_f32_e32 v77, v196, v161
	v_add_f32_e32 v77, v77, v4
	v_sub_f32_e32 v78, v208, v162
	v_add_f32_e32 v77, v78, v77
	;; [unrolled: 2-line block ×5, first 2 shown]
	v_sub_f32_e32 v78, v254, v168
	v_mul_f32_e32 v179, 0xbf7ba420, v119
	v_mul_f32_e32 v180, 0x3f6eb680, v119
	v_mul_f32_e32 v96, 0xbf59a7d5, v119
	v_mul_f32_e32 v80, 0x3f3d2fb0, v119
	v_mul_f32_e32 v105, 0xbf1a4643, v119
	v_mul_f32_e32 v119, 0x3ee437d1, v119
	v_add_f32_e32 v77, v78, v77
	v_sub_f32_e32 v69, v69, v170
	v_add_f32_e32 v69, v69, v77
	v_sub_f32_e32 v77, v119, v172
	v_add_f32_e32 v69, v77, v69
	v_add_f32_e32 v77, v150, v195
	v_add_f32_e32 v77, v77, v5
	v_add_f32_e32 v78, v151, v207
	v_add_f32_e32 v77, v78, v77
	v_add_f32_e32 v78, v153, v219
	v_add_f32_e32 v77, v78, v77
	v_add_f32_e32 v78, v155, v231
	v_add_f32_e32 v77, v78, v77
	v_add_f32_e32 v78, v157, v243
	v_add_f32_e32 v77, v78, v77
	v_add_f32_e32 v78, v158, v186
	v_add_f32_e32 v77, v78, v77
	v_add_f32_e32 v78, v159, v178
	v_add_f32_e32 v77, v78, v77
	v_add_f32_e32 v78, v160, v182
	v_add_f32_e32 v78, v78, v77
	v_sub_f32_e32 v77, v194, v145
	v_add_f32_e32 v77, v77, v4
	v_sub_f32_e32 v106, v206, v146
	v_add_f32_e32 v77, v106, v77
	v_sub_f32_e32 v106, v53, v147
	buffer_load_dword v53, off, s[24:27], 0 ; 4-byte Folded Reload
	v_add_f32_e32 v77, v106, v77
	v_sub_f32_e32 v106, v230, v148
	v_add_f32_e32 v77, v106, v77
	v_sub_f32_e32 v106, v242, v149
	;; [unrolled: 2-line block ×5, first 2 shown]
	v_add_f32_e32 v77, v105, v77
	v_add_f32_e32 v105, v132, v193
	;; [unrolled: 1-line block ×17, first 2 shown]
	v_sub_f32_e32 v100, v144, v125
	v_add_f32_e32 v100, v100, v4
	v_sub_f32_e32 v105, v204, v126
	v_add_f32_e32 v100, v105, v100
	;; [unrolled: 2-line block ×8, first 2 shown]
	v_add_f32_e32 v100, v110, v143
	v_add_f32_e32 v100, v100, v5
	;; [unrolled: 1-line block ×16, first 2 shown]
	v_sub_f32_e32 v100, v130, v103
	v_add_f32_e32 v100, v100, v4
	v_sub_f32_e32 v101, v202, v104
	v_add_f32_e32 v100, v101, v100
	;; [unrolled: 2-line block ×8, first 2 shown]
	v_add_f32_e32 v76, v87, v128
	v_add_f32_e32 v76, v76, v5
	;; [unrolled: 1-line block ×16, first 2 shown]
	v_sub_f32_e32 v76, v121, v82
	v_add_f32_e32 v54, v54, v118
	s_waitcnt vmcnt(0)
	v_sub_f32_e32 v53, v53, v55
	v_add_f32_e32 v76, v76, v4
	v_add_f32_e32 v54, v54, v5
	;; [unrolled: 1-line block ×20, first 2 shown]
	v_sub_f32_e32 v55, v198, v57
	v_add_f32_e32 v5, v11, v5
	v_add_f32_e32 v4, v10, v4
	v_sub_f32_e32 v82, v200, v83
	v_add_f32_e32 v54, v56, v54
	v_add_f32_e32 v56, v58, v211
	v_add_f32_e32 v53, v55, v53
	v_sub_f32_e32 v55, v210, v59
	v_add_f32_e32 v5, v13, v5
	;; [unrolled: 4-line block ×13, first 2 shown]
	v_add_f32_e32 v53, v55, v53
	v_add_f32_e32 v5, v52, v5
	;; [unrolled: 1-line block ×3, first 2 shown]
	v_add_lshl_u32 v6, v61, v218, 3
	v_add_f32_e32 v86, v82, v76
	ds_write2_b64 v6, v[4:5], v[53:54] offset1:1
	ds_write2_b64 v6, v[86:87], v[96:97] offset0:2 offset1:3
	ds_write2_b64 v6, v[80:81], v[77:78] offset0:4 offset1:5
	ds_write2_b64 v6, v[69:70], v[66:67] offset0:6 offset1:7
	ds_write2_b64 v6, v[36:37], v[38:39] offset0:8 offset1:9
	ds_write2_b64 v6, v[49:50], v[47:48] offset0:10 offset1:11
	ds_write2_b64 v6, v[45:46], v[43:44] offset0:12 offset1:13
	ds_write2_b64 v6, v[41:42], v[0:1] offset0:14 offset1:15
	ds_write_b64 v6, v[2:3] offset:128
.LBB0_7:
	s_or_b64 exec, exec, s[2:3]
	v_add_lshl_u32 v78, v61, v73, 3
	s_waitcnt lgkmcnt(0)
	s_barrier
	ds_read2_b64 v[4:7], v78 offset1:34
	ds_read2_b64 v[12:15], v78 offset0:153 offset1:187
	ds_read2_b64 v[8:11], v78 offset0:68 offset1:102
	;; [unrolled: 1-line block ×3, first 2 shown]
	v_cmp_gt_u16_e64 s[2:3], 17, v73
	s_and_saveexec_b64 s[4:5], s[2:3]
	s_cbranch_execz .LBB0_9
; %bb.8:
	v_add_u32_e32 v20, 0x400, v78
	ds_read2_b64 v[36:39], v20 offset0:8 offset1:161
.LBB0_9:
	s_or_b64 exec, exec, s[4:5]
	v_add_co_u32_e32 v20, vcc, 0xffffffef, v73
	v_addc_co_u32_e64 v21, s[4:5], 0, -1, vcc
	v_cndmask_b32_e64 v21, v21, 0, s[2:3]
	v_cndmask_b32_e64 v20, v20, v73, s[2:3]
	v_lshlrev_b64 v[21:22], 3, v[20:21]
	v_mov_b32_e32 v23, s9
	v_add_co_u32_e32 v21, vcc, s8, v21
	v_addc_co_u32_e32 v22, vcc, v23, v22, vcc
	v_add_u16_e32 v23, 34, v73
	s_movk_i32 s4, 0xf1
	v_mul_lo_u16_sdwa v24, v23, s4 dst_sel:DWORD dst_unused:UNUSED_PAD src0_sel:BYTE_0 src1_sel:DWORD
	v_lshrrev_b16_e32 v24, 12, v24
	v_mul_lo_u16_e32 v25, 17, v24
	v_add_u16_e32 v27, 0x44, v73
	v_add_u16_e32 v30, 0x66, v73
	v_sub_u16_e32 v23, v23, v25
	v_mov_b32_e32 v25, 3
	v_mul_lo_u16_sdwa v28, v27, s4 dst_sel:DWORD dst_unused:UNUSED_PAD src0_sel:BYTE_0 src1_sel:DWORD
	v_mul_lo_u16_sdwa v31, v30, s4 dst_sel:DWORD dst_unused:UNUSED_PAD src0_sel:BYTE_0 src1_sel:DWORD
	v_lshlrev_b32_sdwa v26, v25, v23 dst_sel:DWORD dst_unused:UNUSED_PAD src0_sel:DWORD src1_sel:BYTE_0
	v_lshrrev_b16_e32 v28, 12, v28
	v_lshrrev_b16_e32 v31, 12, v31
	v_mul_lo_u16_e32 v29, 17, v28
	global_load_dwordx2 v[59:60], v[21:22], off
	global_load_dwordx2 v[57:58], v26, s[8:9]
	v_mul_lo_u16_e32 v21, 17, v31
	v_sub_u16_e32 v27, v27, v29
	v_sub_u16_e32 v26, v30, v21
	v_lshlrev_b32_sdwa v29, v25, v27 dst_sel:DWORD dst_unused:UNUSED_PAD src0_sel:DWORD src1_sel:BYTE_0
	v_lshlrev_b32_sdwa v21, v25, v26 dst_sel:DWORD dst_unused:UNUSED_PAD src0_sel:DWORD src1_sel:BYTE_0
	global_load_dwordx2 v[55:56], v29, s[8:9]
	global_load_dwordx2 v[53:54], v21, s[8:9]
	v_add_u16_e32 v21, 0x88, v73
	v_mul_lo_u16_sdwa v22, v21, s4 dst_sel:DWORD dst_unused:UNUSED_PAD src0_sel:BYTE_0 src1_sel:DWORD
	v_lshrrev_b16_e32 v22, 12, v22
	v_mul_lo_u16_e32 v22, 17, v22
	v_sub_u16_e32 v79, v21, v22
	v_and_b32_e32 v22, 0xff, v79
	v_lshlrev_b32_e32 v21, 3, v22
	global_load_dwordx2 v[51:52], v21, s[8:9]
	v_cmp_lt_u16_e32 vcc, 16, v73
	v_cndmask_b32_e64 v21, 0, 34, vcc
	v_add_u32_e32 v25, v20, v21
	v_add_lshl_u32 v80, v61, v25, 3
	s_load_dwordx4 s[4:7], s[6:7], 0x0
	s_waitcnt vmcnt(0) lgkmcnt(0)
	s_barrier
	v_mul_f32_e32 v20, v13, v60
	v_mul_f32_e32 v21, v12, v60
	v_fma_f32 v12, v12, v59, -v20
	v_fmac_f32_e32 v21, v13, v59
	v_sub_f32_e32 v12, v4, v12
	v_fma_f32 v4, v4, 2.0, -v12
	v_mul_f32_e32 v29, v15, v58
	v_mul_f32_e32 v30, v14, v58
	;; [unrolled: 1-line block ×6, first 2 shown]
	v_fma_f32 v14, v14, v57, -v29
	v_fmac_f32_e32 v30, v15, v57
	v_fma_f32 v16, v16, v55, -v32
	v_fmac_f32_e32 v33, v17, v55
	v_mul_f32_e32 v13, v39, v52
	v_fma_f32 v20, v38, v51, -v13
	v_sub_f32_e32 v13, v5, v21
	v_fma_f32 v5, v5, 2.0, -v13
	ds_write2_b64 v80, v[4:5], v[12:13] offset1:17
	v_mad_legacy_u16 v4, v24, 34, v23
	v_and_b32_e32 v4, 0xff, v4
	v_add_lshl_u32 v81, v61, v4, 3
	v_mul_u32_u24_e32 v4, 34, v28
	v_add_u32_sdwa v4, v4, v27 dst_sel:DWORD dst_unused:UNUSED_PAD src0_sel:DWORD src1_sel:BYTE_0
	v_fma_f32 v18, v18, v53, -v34
	v_fmac_f32_e32 v35, v19, v53
	v_mul_f32_e32 v29, v38, v52
	v_add_lshl_u32 v82, v61, v4, 3
	v_mul_u32_u24_e32 v4, 34, v31
	v_fmac_f32_e32 v29, v39, v51
	v_sub_f32_e32 v14, v6, v14
	v_sub_f32_e32 v15, v7, v30
	;; [unrolled: 1-line block ×6, first 2 shown]
	v_add_u32_sdwa v4, v4, v26 dst_sel:DWORD dst_unused:UNUSED_PAD src0_sel:DWORD src1_sel:BYTE_0
	v_fma_f32 v6, v6, 2.0, -v14
	v_fma_f32 v7, v7, 2.0, -v15
	v_fma_f32 v8, v8, 2.0, -v16
	v_fma_f32 v9, v9, 2.0, -v17
	v_fma_f32 v10, v10, 2.0, -v18
	v_fma_f32 v11, v11, 2.0, -v19
	v_sub_f32_e32 v20, v36, v20
	v_sub_f32_e32 v21, v37, v29
	v_add_lshl_u32 v83, v61, v4, 3
	ds_write2_b64 v81, v[6:7], v[14:15] offset1:17
	ds_write2_b64 v82, v[8:9], v[16:17] offset1:17
	;; [unrolled: 1-line block ×3, first 2 shown]
	s_and_saveexec_b64 s[10:11], s[2:3]
	s_cbranch_execz .LBB0_11
; %bb.10:
	v_add_lshl_u32 v6, v61, v22, 3
	v_fma_f32 v5, v37, 2.0, -v21
	v_fma_f32 v4, v36, 2.0, -v20
	v_add_u32_e32 v6, 0x800, v6
	ds_write2_b64 v6, v[4:5], v[20:21] offset0:16 offset1:33
.LBB0_11:
	s_or_b64 exec, exec, s[10:11]
	v_lshlrev_b32_e32 v22, 6, v73
	s_waitcnt lgkmcnt(0)
	s_barrier
	global_load_dwordx4 v[16:19], v22, s[8:9] offset:136
	global_load_dwordx4 v[12:15], v22, s[8:9] offset:152
	;; [unrolled: 1-line block ×4, first 2 shown]
	ds_read2_b64 v[22:25], v78 offset1:34
	ds_read2_b64 v[26:29], v78 offset0:68 offset1:102
	ds_read2_b64 v[30:33], v78 offset0:136 offset1:170
	;; [unrolled: 1-line block ×3, first 2 shown]
	ds_read_b64 v[38:39], v78 offset:2176
	s_waitcnt lgkmcnt(4)
	v_mov_b32_e32 v61, v22
	v_mov_b32_e32 v62, v23
	s_mov_b32 s8, 0xbf248dbb
	s_waitcnt vmcnt(3)
	v_mul_f32_e32 v63, v25, v17
	v_mul_f32_e32 v64, v24, v17
	s_waitcnt vmcnt(2) lgkmcnt(3)
	v_mul_f32_e32 v68, v28, v13
	s_waitcnt vmcnt(0) lgkmcnt(0)
	v_mul_f32_e32 v86, v39, v7
	v_mul_f32_e32 v87, v38, v7
	;; [unrolled: 1-line block ×13, first 2 shown]
	v_fma_f32 v24, v24, v16, -v63
	v_fmac_f32_e32 v64, v25, v16
	v_fmac_f32_e32 v68, v29, v12
	v_fma_f32 v29, v38, v6, -v86
	v_fmac_f32_e32 v87, v39, v6
	v_fma_f32 v25, v26, v18, -v65
	v_fmac_f32_e32 v66, v27, v18
	v_fma_f32 v26, v28, v12, -v67
	v_fma_f32 v63, v30, v14, -v69
	v_fmac_f32_e32 v70, v31, v14
	v_fma_f32 v65, v32, v8, -v71
	v_fmac_f32_e32 v72, v33, v8
	v_fma_f32 v27, v34, v10, -v76
	v_fmac_f32_e32 v77, v35, v10
	v_fma_f32 v28, v36, v4, -v84
	v_fmac_f32_e32 v85, v37, v4
	v_add_f32_e32 v34, v24, v29
	v_add_f32_e32 v35, v64, v87
	v_sub_f32_e32 v71, v24, v29
	v_sub_f32_e32 v64, v64, v87
	v_add_f32_e32 v36, v25, v28
	v_add_f32_e32 v37, v66, v85
	;; [unrolled: 1-line block ×4, first 2 shown]
	v_sub_f32_e32 v76, v25, v28
	v_sub_f32_e32 v66, v66, v85
	;; [unrolled: 1-line block ×6, first 2 shown]
	v_mul_f32_e32 v26, 0x3f248dbb, v71
	v_mul_f32_e32 v27, 0x3f248dbb, v64
	v_fmac_f32_e32 v61, 0x3f441b7d, v34
	v_fmac_f32_e32 v62, 0x3f441b7d, v35
	v_add_f32_e32 v86, v63, v65
	v_add_f32_e32 v87, v70, v72
	v_fmac_f32_e32 v26, 0x3f7c1c5c, v76
	v_fmac_f32_e32 v27, 0x3f7c1c5c, v66
	;; [unrolled: 1-line block ×4, first 2 shown]
	v_add_f32_e32 v32, v77, v71
	v_add_f32_e32 v33, v85, v64
	v_add_f32_e32 v88, v36, v34
	v_add_f32_e32 v89, v37, v35
	v_fmac_f32_e32 v26, 0x3f5db3d7, v84
	v_fmac_f32_e32 v27, 0x3f5db3d7, v68
	v_fmac_f32_e32 v61, -0.5, v67
	v_fmac_f32_e32 v62, -0.5, v69
	v_sub_f32_e32 v38, v32, v76
	v_sub_f32_e32 v39, v33, v66
	v_add_f32_e32 v32, v67, v22
	v_add_f32_e32 v33, v69, v23
	;; [unrolled: 1-line block ×4, first 2 shown]
	v_mul_f32_e32 v29, 0xbf248dbb, v77
	v_mul_f32_e32 v28, 0xbf248dbb, v85
	v_fmac_f32_e32 v26, 0x3eaf1d44, v77
	v_fmac_f32_e32 v27, 0x3eaf1d44, v85
	;; [unrolled: 1-line block ×4, first 2 shown]
	v_fmac_f32_e32 v32, -0.5, v90
	v_fmac_f32_e32 v33, -0.5, v91
	v_fmac_f32_e32 v29, 0x3f7c1c5c, v71
	v_fmac_f32_e32 v28, 0x3f7c1c5c, v64
	v_add_f32_e32 v24, v27, v61
	v_sub_f32_e32 v25, v62, v26
	v_mul_f32_e32 v61, 0x3f5db3d7, v38
	v_mul_f32_e32 v62, 0x3f5db3d7, v39
	v_fmac_f32_e32 v32, 0x3f5db3d7, v39
	v_fmac_f32_e32 v33, 0xbf5db3d7, v38
	;; [unrolled: 1-line block ×4, first 2 shown]
	v_fma_f32 v38, -2.0, v62, v32
	v_fma_f32 v39, 2.0, v61, v33
	v_mul_f32_e32 v61, 0x3f7c1c5c, v77
	v_mul_f32_e32 v62, 0x3f7c1c5c, v85
	v_fmac_f32_e32 v29, 0x3eaf1d44, v76
	v_fmac_f32_e32 v28, 0x3eaf1d44, v66
	v_fma_f32 v76, v76, s8, -v61
	v_fma_f32 v66, v66, s8, -v62
	v_add_f32_e32 v61, v67, v88
	v_add_f32_e32 v62, v69, v89
	;; [unrolled: 1-line block ×4, first 2 shown]
	v_fma_f32 v30, -2.0, v27, v24
	v_fma_f32 v31, 2.0, v26, v25
	v_mov_b32_e32 v26, v22
	v_mov_b32_e32 v27, v23
	v_add_f32_e32 v61, v65, v61
	v_add_f32_e32 v62, v72, v62
	v_fmac_f32_e32 v26, 0x3f441b7d, v86
	v_fmac_f32_e32 v27, 0x3f441b7d, v87
	v_add_f32_e32 v61, v61, v22
	v_add_f32_e32 v62, v62, v23
	v_fmac_f32_e32 v22, 0x3f441b7d, v36
	v_fmac_f32_e32 v23, 0x3f441b7d, v37
	;; [unrolled: 1-line block ×6, first 2 shown]
	v_fmac_f32_e32 v26, -0.5, v67
	v_fmac_f32_e32 v27, -0.5, v69
	v_fmac_f32_e32 v76, 0x3f5db3d7, v84
	v_fmac_f32_e32 v66, 0x3f5db3d7, v68
	v_fmac_f32_e32 v22, -0.5, v67
	v_fmac_f32_e32 v23, -0.5, v69
	v_fmac_f32_e32 v26, 0xbf708fb2, v36
	v_fmac_f32_e32 v27, 0xbf708fb2, v37
	;; [unrolled: 1-line block ×6, first 2 shown]
	v_add_f32_e32 v26, v28, v26
	v_sub_f32_e32 v27, v27, v29
	v_add_f32_e32 v34, v66, v22
	v_sub_f32_e32 v35, v23, v76
	v_lshl_add_u32 v77, v73, 3, v75
	v_fma_f32 v28, -2.0, v28, v26
	v_fma_f32 v29, 2.0, v29, v27
	v_fma_f32 v36, -2.0, v66, v34
	v_fma_f32 v37, 2.0, v76, v35
	v_add_u32_e32 v22, 0x400, v77
	ds_write_b64 v77, v[61:62]
	ds_write2_b64 v77, v[24:25], v[26:27] offset0:34 offset1:68
	ds_write2_b64 v77, v[32:33], v[34:35] offset0:102 offset1:136
	;; [unrolled: 1-line block ×4, first 2 shown]
	s_waitcnt lgkmcnt(0)
	s_barrier
	s_and_saveexec_b64 s[8:9], s[0:1]
	s_cbranch_execz .LBB0_13
; %bb.12:
	global_load_dwordx2 v[22:23], v74, s[12:13] offset:2448
	s_add_u32 s10, s12, 0x990
	s_addc_u32 s11, s13, 0
	global_load_dwordx2 v[71:72], v74, s[10:11] offset:144
	global_load_dwordx2 v[104:105], v74, s[10:11] offset:288
	;; [unrolled: 1-line block ×14, first 2 shown]
	ds_read_b64 v[63:64], v77
	global_load_dwordx2 v[130:131], v74, s[10:11] offset:2160
	global_load_dwordx2 v[132:133], v74, s[10:11] offset:2304
	s_waitcnt vmcnt(16) lgkmcnt(0)
	v_mul_f32_e32 v65, v64, v23
	v_mul_f32_e32 v66, v63, v23
	v_fma_f32 v65, v63, v22, -v65
	v_fmac_f32_e32 v66, v64, v22
	ds_write_b64 v77, v[65:66]
	ds_read2_b64 v[63:66], v77 offset0:18 offset1:36
	ds_read2_b64 v[67:70], v77 offset0:54 offset1:72
	;; [unrolled: 1-line block ×7, first 2 shown]
	s_waitcnt vmcnt(15) lgkmcnt(6)
	v_mul_f32_e32 v22, v64, v72
	v_mul_f32_e32 v23, v63, v72
	s_waitcnt vmcnt(14)
	v_mul_f32_e32 v76, v66, v105
	v_mul_f32_e32 v72, v65, v105
	s_waitcnt vmcnt(13) lgkmcnt(5)
	v_mul_f32_e32 v134, v68, v107
	v_mul_f32_e32 v105, v67, v107
	s_waitcnt vmcnt(12)
	v_mul_f32_e32 v135, v70, v109
	v_mul_f32_e32 v107, v69, v109
	;; [unrolled: 6-line block ×6, first 2 shown]
	v_fma_f32 v22, v63, v71, -v22
	v_fmac_f32_e32 v23, v64, v71
	v_fma_f32 v71, v65, v104, -v76
	v_fmac_f32_e32 v72, v66, v104
	;; [unrolled: 2-line block ×12, first 2 shown]
	ds_write2_b64 v77, v[22:23], v[71:72] offset0:18 offset1:36
	ds_write2_b64 v77, v[104:105], v[106:107] offset0:54 offset1:72
	;; [unrolled: 1-line block ×6, first 2 shown]
	v_add_u32_e32 v67, 0x800, v77
	ds_read2_b64 v[63:66], v67 offset0:14 offset1:32
	s_waitcnt vmcnt(3) lgkmcnt(7)
	v_mul_f32_e32 v144, v101, v127
	v_mul_f32_e32 v125, v100, v127
	s_waitcnt vmcnt(2)
	v_mul_f32_e32 v127, v103, v129
	v_mul_f32_e32 v23, v102, v129
	v_fma_f32 v124, v100, v126, -v144
	v_fmac_f32_e32 v125, v101, v126
	v_fma_f32 v22, v102, v128, -v127
	v_fmac_f32_e32 v23, v103, v128
	ds_write2_b64 v77, v[124:125], v[22:23] offset0:234 offset1:252
	s_waitcnt vmcnt(1) lgkmcnt(1)
	v_mul_f32_e32 v22, v64, v131
	v_mul_f32_e32 v23, v63, v131
	v_fma_f32 v22, v63, v130, -v22
	v_fmac_f32_e32 v23, v64, v130
	s_waitcnt vmcnt(0)
	v_mul_f32_e32 v63, v66, v133
	v_mul_f32_e32 v64, v65, v133
	v_fma_f32 v63, v65, v132, -v63
	v_fmac_f32_e32 v64, v66, v132
	ds_write2_b64 v67, v[22:23], v[63:64] offset0:14 offset1:32
.LBB0_13:
	s_or_b64 exec, exec, s[8:9]
	s_waitcnt lgkmcnt(0)
	s_barrier
	s_and_saveexec_b64 s[8:9], s[0:1]
	s_cbranch_execz .LBB0_15
; %bb.14:
	ds_read_b64 v[61:62], v77
	ds_read2_b64 v[24:27], v77 offset0:18 offset1:36
	ds_read2_b64 v[32:35], v77 offset0:54 offset1:72
	;; [unrolled: 1-line block ×7, first 2 shown]
	v_add_u32_e32 v0, 0x800, v77
	ds_read2_b64 v[0:3], v0 offset0:14 offset1:32
	s_waitcnt lgkmcnt(3)
	v_mov_b32_e32 v49, v22
	v_mov_b32_e32 v50, v23
	s_waitcnt lgkmcnt(2)
	v_mov_b32_e32 v47, v41
	v_mov_b32_e32 v48, v42
	;; [unrolled: 1-line block ×4, first 2 shown]
	s_waitcnt lgkmcnt(1)
	v_mov_b32_e32 v43, v63
	v_mov_b32_e32 v44, v64
	;; [unrolled: 1-line block ×4, first 2 shown]
.LBB0_15:
	s_or_b64 exec, exec, s[8:9]
	s_waitcnt lgkmcnt(0)
	v_sub_f32_e32 v100, v25, v3
	v_mul_f32_e32 v22, 0xbe3c28d5, v100
	v_sub_f32_e32 v101, v27, v1
	v_add_f32_e32 v84, v2, v24
	v_mov_b32_e32 v23, v22
	v_mul_f32_e32 v65, 0x3eb8f4ab, v101
	v_add_f32_e32 v103, v3, v25
	s_mov_b32 s10, 0xbf7ba420
	v_fmac_f32_e32 v23, 0xbf7ba420, v84
	v_add_f32_e32 v85, v0, v26
	v_mov_b32_e32 v66, v65
	v_sub_f32_e32 v86, v24, v2
	v_add_f32_e32 v23, v61, v23
	v_mul_f32_e32 v63, 0xbf7ba420, v103
	v_fma_f32 v22, v84, s10, -v22
	v_add_f32_e32 v105, v1, v27
	s_mov_b32 s11, 0x3f6eb680
	v_fmac_f32_e32 v66, 0x3f6eb680, v85
	v_mov_b32_e32 v64, v63
	v_add_f32_e32 v22, v61, v22
	v_fmac_f32_e32 v63, 0xbe3c28d5, v86
	v_sub_f32_e32 v88, v26, v0
	v_add_f32_e32 v23, v66, v23
	v_mul_f32_e32 v66, 0x3f6eb680, v105
	v_fma_f32 v65, v85, s11, -v65
	v_sub_f32_e32 v102, v33, v42
	v_add_f32_e32 v63, v62, v63
	v_mov_b32_e32 v67, v66
	v_add_f32_e32 v22, v65, v22
	v_fmac_f32_e32 v66, 0x3eb8f4ab, v88
	v_mul_f32_e32 v65, 0xbf06c442, v102
	v_add_f32_e32 v63, v66, v63
	v_add_f32_e32 v87, v41, v32
	v_mov_b32_e32 v66, v65
	v_fmac_f32_e32 v64, 0x3e3c28d5, v86
	v_add_f32_e32 v107, v42, v33
	s_mov_b32 s16, 0xbf59a7d5
	v_fmac_f32_e32 v66, 0xbf59a7d5, v87
	v_add_f32_e32 v64, v62, v64
	v_fmac_f32_e32 v67, 0xbeb8f4ab, v88
	v_sub_f32_e32 v90, v32, v41
	v_add_f32_e32 v23, v66, v23
	v_mul_f32_e32 v66, 0xbf59a7d5, v107
	v_fma_f32 v65, v87, s16, -v65
	v_sub_f32_e32 v104, v35, v44
	v_add_f32_e32 v64, v67, v64
	v_mov_b32_e32 v67, v66
	v_add_f32_e32 v22, v65, v22
	v_fmac_f32_e32 v66, 0xbf06c442, v90
	v_mul_f32_e32 v65, 0x3f2c7751, v104
	v_add_f32_e32 v63, v66, v63
	v_add_f32_e32 v89, v43, v34
	v_mov_b32_e32 v66, v65
	v_add_f32_e32 v109, v44, v35
	s_mov_b32 s17, 0x3f3d2fb0
	v_fmac_f32_e32 v66, 0x3f3d2fb0, v89
	v_fmac_f32_e32 v67, 0x3f06c442, v90
	v_sub_f32_e32 v92, v34, v43
	v_add_f32_e32 v23, v66, v23
	v_mul_f32_e32 v66, 0x3f3d2fb0, v109
	v_fma_f32 v65, v89, s17, -v65
	v_sub_f32_e32 v106, v37, v46
	v_add_f32_e32 v64, v67, v64
	v_mov_b32_e32 v67, v66
	v_add_f32_e32 v22, v65, v22
	v_fmac_f32_e32 v66, 0x3f2c7751, v92
	v_mul_f32_e32 v65, 0xbf4c4adb, v106
	v_add_f32_e32 v63, v66, v63
	v_add_f32_e32 v91, v45, v36
	v_mov_b32_e32 v66, v65
	v_add_f32_e32 v111, v46, v37
	s_mov_b32 s18, 0xbf1a4643
	v_fmac_f32_e32 v66, 0xbf1a4643, v91
	;; [unrolled: 17-line block ×4, first 2 shown]
	v_fmac_f32_e32 v67, 0xbf65296c, v96
	v_sub_f32_e32 v98, v28, v49
	v_add_f32_e32 v23, v66, v23
	v_mul_f32_e32 v66, 0xbe8c1d8e, v114
	v_fma_f32 v65, v95, s20, -v65
	v_sub_f32_e32 v112, v31, v21
	v_add_f32_e32 v64, v67, v64
	v_mov_b32_e32 v67, v66
	v_add_f32_e32 v22, v65, v22
	v_fmac_f32_e32 v66, 0xbf763a35, v98
	v_mul_f32_e32 v65, 0x3f7ee86f, v112
	v_add_f32_e32 v66, v66, v63
	v_add_f32_e32 v97, v20, v30
	v_mov_b32_e32 v63, v65
	v_add_f32_e32 v115, v21, v31
	v_fmac_f32_e32 v63, 0x3dbcf732, v97
	v_fmac_f32_e32 v67, 0x3f763a35, v98
	v_add_f32_e32 v63, v63, v23
	v_mul_f32_e32 v23, 0x3dbcf732, v115
	v_add_f32_e32 v64, v67, v64
	v_sub_f32_e32 v99, v30, v20
	s_mov_b32 s21, 0x3dbcf732
	v_mov_b32_e32 v67, v23
	v_fmac_f32_e32 v67, 0xbf7ee86f, v99
	v_fma_f32 v65, v97, s21, -v65
	v_fmac_f32_e32 v23, 0x3f7ee86f, v99
	v_add_f32_e32 v64, v67, v64
	v_add_f32_e32 v65, v65, v22
	;; [unrolled: 1-line block ×3, first 2 shown]
	s_barrier
	s_and_saveexec_b64 s[8:9], s[0:1]
	s_cbranch_execz .LBB0_17
; %bb.16:
	v_mul_f32_e32 v76, 0xbf59a7d5, v103
	v_mov_b32_e32 v22, v76
	v_mul_f32_e32 v120, 0x3ee437d1, v105
	v_fmac_f32_e32 v22, 0x3f06c442, v86
	v_mov_b32_e32 v23, v120
	v_add_f32_e32 v22, v62, v22
	v_fmac_f32_e32 v23, 0xbf65296c, v88
	v_mul_f32_e32 v121, 0x3dbcf732, v107
	v_add_f32_e32 v22, v23, v22
	v_mov_b32_e32 v23, v121
	v_fmac_f32_e32 v23, 0x3f7ee86f, v90
	v_mul_f32_e32 v122, 0xbf1a4643, v109
	v_add_f32_e32 v22, v23, v22
	v_mov_b32_e32 v23, v122
	v_fmac_f32_e32 v23, 0xbf4c4adb, v92
	v_mul_f32_e32 v123, 0x3f6eb680, v111
	v_add_f32_e32 v22, v23, v22
	v_mov_b32_e32 v23, v123
	v_fmac_f32_e32 v23, 0x3eb8f4ab, v94
	v_mul_f32_e32 v124, 0xbf7ba420, v113
	v_add_f32_e32 v22, v23, v22
	v_mov_b32_e32 v23, v124
	v_fmac_f32_e32 v23, 0x3e3c28d5, v96
	v_mul_f32_e32 v125, 0x3f3d2fb0, v114
	v_add_f32_e32 v22, v23, v22
	v_mov_b32_e32 v23, v125
	v_fmac_f32_e32 v23, 0xbf2c7751, v98
	v_mul_f32_e32 v126, 0xbe8c1d8e, v115
	v_add_f32_e32 v22, v23, v22
	v_mov_b32_e32 v23, v126
	v_fmac_f32_e32 v23, 0x3f763a35, v99
	v_mul_f32_e32 v127, 0xbf06c442, v100
	v_add_f32_e32 v23, v23, v22
	v_mov_b32_e32 v22, v127
	v_mul_f32_e32 v128, 0x3f65296c, v101
	v_fmac_f32_e32 v22, 0xbf59a7d5, v84
	v_mov_b32_e32 v67, v128
	v_add_f32_e32 v22, v61, v22
	v_fmac_f32_e32 v67, 0x3ee437d1, v85
	v_mul_f32_e32 v129, 0xbf7ee86f, v102
	v_add_f32_e32 v22, v67, v22
	v_mov_b32_e32 v67, v129
	v_fmac_f32_e32 v67, 0x3dbcf732, v87
	v_mul_f32_e32 v130, 0x3f4c4adb, v104
	v_add_f32_e32 v22, v67, v22
	v_mov_b32_e32 v67, v130
	v_fmac_f32_e32 v67, 0xbf1a4643, v89
	v_mul_f32_e32 v131, 0xbeb8f4ab, v106
	v_add_f32_e32 v22, v67, v22
	v_mov_b32_e32 v67, v131
	v_fmac_f32_e32 v67, 0x3f6eb680, v91
	v_mul_f32_e32 v132, 0xbe3c28d5, v108
	v_add_f32_e32 v22, v67, v22
	v_mov_b32_e32 v67, v132
	v_fmac_f32_e32 v67, 0xbf7ba420, v93
	v_mul_f32_e32 v133, 0x3f2c7751, v110
	v_add_f32_e32 v22, v67, v22
	v_mov_b32_e32 v67, v133
	v_fmac_f32_e32 v67, 0x3f3d2fb0, v95
	v_mul_f32_e32 v134, 0xbf763a35, v112
	v_add_f32_e32 v22, v67, v22
	v_mov_b32_e32 v67, v134
	v_fmac_f32_e32 v67, 0xbe8c1d8e, v97
	v_mul_f32_e32 v135, 0xbf1a4643, v103
	v_add_f32_e32 v22, v67, v22
	;; [unrolled: 32-line block ×5, first 2 shown]
	v_mov_b32_e32 v69, v159
	v_mul_f32_e32 v160, 0x3f06c442, v101
	v_fmac_f32_e32 v69, 0xbe8c1d8e, v84
	v_mov_b32_e32 v71, v160
	v_add_f32_e32 v69, v61, v69
	v_fmac_f32_e32 v71, 0xbf59a7d5, v85
	v_mul_f32_e32 v161, 0x3f2c7751, v102
	v_add_f32_e32 v69, v71, v69
	v_mov_b32_e32 v71, v161
	v_fmac_f32_e32 v71, 0x3f3d2fb0, v87
	v_mul_f32_e32 v162, 0xbf65296c, v104
	v_add_f32_e32 v69, v71, v69
	v_mov_b32_e32 v71, v162
	;; [unrolled: 4-line block ×3, first 2 shown]
	v_fmac_f32_e32 v71, 0xbf7ba420, v91
	v_mul_f32_e32 v164, 0x3f7ee86f, v108
	v_add_f32_e32 v25, v25, v62
	v_add_f32_e32 v69, v71, v69
	v_mov_b32_e32 v71, v164
	v_add_f32_e32 v25, v27, v25
	v_fmac_f32_e32 v71, 0x3dbcf732, v93
	v_mul_f32_e32 v165, 0xbeb8f4ab, v110
	v_add_f32_e32 v25, v33, v25
	v_add_f32_e32 v69, v71, v69
	v_mov_b32_e32 v71, v165
	v_add_f32_e32 v25, v35, v25
	;; [unrolled: 6-line block ×3, first 2 shown]
	v_fmac_f32_e32 v71, 0xbf1a4643, v97
	v_mul_f32_e32 v167, 0x3dbcf732, v103
	v_add_f32_e32 v25, v29, v25
	v_add_f32_e32 v69, v71, v69
	v_mov_b32_e32 v71, v167
	v_mul_f32_e32 v168, 0xbf7ba420, v105
	v_add_f32_e32 v25, v31, v25
	v_fmac_f32_e32 v71, 0x3f7ee86f, v86
	v_mov_b32_e32 v72, v168
	v_add_f32_e32 v21, v21, v25
	v_add_f32_e32 v71, v62, v71
	v_fmac_f32_e32 v72, 0x3e3c28d5, v88
	v_mul_f32_e32 v169, 0xbe8c1d8e, v107
	v_add_f32_e32 v21, v50, v21
	v_add_f32_e32 v71, v72, v71
	v_mov_b32_e32 v72, v169
	v_add_f32_e32 v21, v48, v21
	v_fmac_f32_e32 v72, 0xbf763a35, v90
	v_mul_f32_e32 v170, 0x3f6eb680, v109
	v_add_f32_e32 v21, v46, v21
	v_add_f32_e32 v71, v72, v71
	v_mov_b32_e32 v72, v170
	;; [unrolled: 6-line block ×3, first 2 shown]
	v_add_f32_e32 v1, v1, v21
	v_fmac_f32_e32 v72, 0x3f65296c, v94
	v_mul_f32_e32 v172, 0xbf59a7d5, v113
	v_add_f32_e32 v1, v3, v1
	v_add_f32_e32 v3, v24, v61
	;; [unrolled: 1-line block ×3, first 2 shown]
	v_mov_b32_e32 v72, v172
	v_add_f32_e32 v3, v26, v3
	v_fmac_f32_e32 v72, 0x3f06c442, v96
	v_mul_f32_e32 v173, 0xbf1a4643, v114
	v_add_f32_e32 v3, v32, v3
	v_add_f32_e32 v71, v72, v71
	v_mov_b32_e32 v72, v173
	v_add_f32_e32 v3, v34, v3
	v_fmac_f32_e32 v72, 0xbf4c4adb, v98
	v_mul_f32_e32 v174, 0x3f3d2fb0, v115
	v_add_f32_e32 v3, v36, v3
	v_add_f32_e32 v71, v72, v71
	v_mov_b32_e32 v72, v174
	v_add_f32_e32 v3, v38, v3
	v_fmac_f32_e32 v72, 0xbf2c7751, v99
	v_mul_f32_e32 v175, 0xbf7ee86f, v100
	v_add_f32_e32 v3, v28, v3
	v_add_f32_e32 v72, v72, v71
	v_mov_b32_e32 v71, v175
	v_mul_f32_e32 v176, 0xbe3c28d5, v101
	v_add_f32_e32 v3, v30, v3
	v_fmac_f32_e32 v71, 0x3dbcf732, v84
	v_mov_b32_e32 v116, v176
	v_add_f32_e32 v3, v20, v3
	v_add_f32_e32 v71, v61, v71
	v_fmac_f32_e32 v116, 0xbf7ba420, v85
	v_mul_f32_e32 v177, 0x3f763a35, v102
	v_add_f32_e32 v3, v49, v3
	v_add_f32_e32 v71, v116, v71
	v_mov_b32_e32 v116, v177
	v_add_f32_e32 v3, v47, v3
	v_fmac_f32_e32 v116, 0xbe8c1d8e, v87
	v_mul_f32_e32 v178, 0x3eb8f4ab, v104
	v_add_f32_e32 v3, v45, v3
	v_add_f32_e32 v71, v116, v71
	v_mov_b32_e32 v116, v178
	;; [unrolled: 6-line block ×3, first 2 shown]
	v_add_f32_e32 v0, v0, v3
	v_fmac_f32_e32 v76, 0xbf06c442, v86
	v_fmac_f32_e32 v116, 0x3ee437d1, v91
	v_mul_f32_e32 v180, 0xbf06c442, v108
	v_add_f32_e32 v0, v2, v0
	v_add_f32_e32 v2, v62, v76
	v_fmac_f32_e32 v120, 0x3f65296c, v88
	v_add_f32_e32 v71, v116, v71
	v_mov_b32_e32 v116, v180
	v_add_f32_e32 v2, v120, v2
	v_fmac_f32_e32 v121, 0xbf7ee86f, v90
	v_fmac_f32_e32 v116, 0xbf59a7d5, v93
	v_mul_f32_e32 v181, 0x3f4c4adb, v110
	v_add_f32_e32 v2, v121, v2
	v_fmac_f32_e32 v122, 0x3f4c4adb, v92
	v_add_f32_e32 v71, v116, v71
	v_mov_b32_e32 v116, v181
	v_add_f32_e32 v2, v122, v2
	v_fmac_f32_e32 v123, 0xbeb8f4ab, v94
	v_fmac_f32_e32 v116, 0xbf1a4643, v95
	v_mul_f32_e32 v182, 0x3f2c7751, v112
	v_add_f32_e32 v2, v123, v2
	v_fmac_f32_e32 v124, 0xbe3c28d5, v96
	v_add_f32_e32 v71, v116, v71
	v_mov_b32_e32 v116, v182
	v_add_f32_e32 v2, v124, v2
	v_fmac_f32_e32 v125, 0x3f2c7751, v98
	v_fmac_f32_e32 v116, 0x3f3d2fb0, v97
	v_mul_f32_e32 v183, 0x3ee437d1, v103
	v_add_f32_e32 v2, v125, v2
	v_fmac_f32_e32 v126, 0xbf763a35, v99
	v_add_f32_e32 v71, v116, v71
	v_mov_b32_e32 v116, v183
	v_mul_f32_e32 v184, 0xbf1a4643, v105
	v_add_f32_e32 v3, v126, v2
	v_fma_f32 v2, v84, s16, -v127
	v_fmac_f32_e32 v116, 0x3f65296c, v86
	v_mov_b32_e32 v117, v184
	v_add_f32_e32 v2, v61, v2
	v_fma_f32 v20, v85, s19, -v128
	v_add_f32_e32 v116, v62, v116
	v_fmac_f32_e32 v117, 0x3f4c4adb, v88
	v_mul_f32_e32 v185, 0xbf7ba420, v107
	v_add_f32_e32 v2, v20, v2
	v_fma_f32 v20, v87, s21, -v129
	v_add_f32_e32 v116, v117, v116
	v_mov_b32_e32 v117, v185
	v_add_f32_e32 v2, v20, v2
	v_fma_f32 v20, v89, s18, -v130
	v_fmac_f32_e32 v117, 0xbe3c28d5, v90
	v_mul_f32_e32 v186, 0xbe8c1d8e, v109
	v_add_f32_e32 v2, v20, v2
	v_fma_f32 v20, v91, s11, -v131
	v_add_f32_e32 v116, v117, v116
	v_mov_b32_e32 v117, v186
	v_add_f32_e32 v2, v20, v2
	v_fma_f32 v20, v93, s10, -v132
	v_fmac_f32_e32 v117, 0xbf763a35, v92
	v_mul_f32_e32 v187, 0x3f3d2fb0, v111
	v_add_f32_e32 v2, v20, v2
	v_fma_f32 v20, v95, s17, -v133
	v_add_f32_e32 v116, v117, v116
	v_mov_b32_e32 v117, v187
	v_add_f32_e32 v2, v20, v2
	v_fma_f32 v20, v97, s20, -v134
	v_fmac_f32_e32 v135, 0xbf4c4adb, v86
	v_fmac_f32_e32 v117, 0xbf2c7751, v94
	v_mul_f32_e32 v188, 0x3f6eb680, v113
	v_add_f32_e32 v2, v20, v2
	v_add_f32_e32 v20, v62, v135
	v_fmac_f32_e32 v136, 0x3f763a35, v88
	v_add_f32_e32 v116, v117, v116
	v_mov_b32_e32 v117, v188
	v_add_f32_e32 v20, v136, v20
	v_fmac_f32_e32 v137, 0xbeb8f4ab, v90
	v_fmac_f32_e32 v117, 0x3eb8f4ab, v96
	v_mul_f32_e32 v189, 0x3dbcf732, v114
	v_add_f32_e32 v20, v137, v20
	v_fmac_f32_e32 v138, 0xbf06c442, v92
	v_add_f32_e32 v116, v117, v116
	v_mov_b32_e32 v117, v189
	v_add_f32_e32 v20, v138, v20
	v_fmac_f32_e32 v139, 0x3f7ee86f, v94
	v_fmac_f32_e32 v117, 0x3f7ee86f, v98
	v_mul_f32_e32 v190, 0xbf59a7d5, v115
	v_add_f32_e32 v20, v139, v20
	v_fmac_f32_e32 v140, 0xbf2c7751, v96
	v_add_f32_e32 v116, v117, v116
	v_mov_b32_e32 v117, v190
	v_add_f32_e32 v20, v140, v20
	v_fmac_f32_e32 v141, 0xbe3c28d5, v98
	v_fmac_f32_e32 v117, 0x3f06c442, v99
	v_mul_f32_e32 v191, 0xbf65296c, v100
	v_add_f32_e32 v20, v141, v20
	v_fmac_f32_e32 v142, 0x3f65296c, v99
	v_add_f32_e32 v117, v117, v116
	v_mov_b32_e32 v116, v191
	v_mul_f32_e32 v192, 0xbf4c4adb, v101
	v_add_f32_e32 v21, v142, v20
	v_fma_f32 v20, v84, s18, -v143
	v_fmac_f32_e32 v116, 0x3ee437d1, v84
	v_mov_b32_e32 v118, v192
	v_add_f32_e32 v20, v61, v20
	v_fma_f32 v24, v85, s20, -v144
	v_add_f32_e32 v116, v61, v116
	v_fmac_f32_e32 v118, 0xbf1a4643, v85
	v_mul_f32_e32 v193, 0x3e3c28d5, v102
	v_add_f32_e32 v20, v24, v20
	v_fma_f32 v24, v87, s11, -v145
	v_add_f32_e32 v116, v118, v116
	v_mov_b32_e32 v118, v193
	v_add_f32_e32 v20, v24, v20
	v_fma_f32 v24, v89, s16, -v146
	v_fmac_f32_e32 v118, 0xbf7ba420, v87
	v_mul_f32_e32 v194, 0x3f763a35, v104
	v_add_f32_e32 v20, v24, v20
	v_fma_f32 v24, v91, s21, -v147
	v_add_f32_e32 v116, v118, v116
	v_mov_b32_e32 v118, v194
	v_add_f32_e32 v20, v24, v20
	v_fma_f32 v24, v93, s17, -v148
	v_fmac_f32_e32 v118, 0xbe8c1d8e, v89
	v_mul_f32_e32 v195, 0x3f2c7751, v106
	v_add_f32_e32 v20, v24, v20
	v_fma_f32 v24, v95, s10, -v149
	v_add_f32_e32 v116, v118, v116
	v_mov_b32_e32 v118, v195
	v_add_f32_e32 v20, v24, v20
	v_fma_f32 v24, v97, s19, -v150
	;; [unrolled: 64-line block ×3, first 2 shown]
	v_fmac_f32_e32 v167, 0xbf7ee86f, v86
	v_fmac_f32_e32 v119, 0xbf06c442, v94
	v_mul_f32_e32 v204, 0xbe8c1d8e, v113
	v_add_f32_e32 v24, v26, v24
	v_add_f32_e32 v26, v62, v167
	v_fmac_f32_e32 v168, 0xbe3c28d5, v88
	v_add_f32_e32 v118, v119, v118
	v_mov_b32_e32 v119, v204
	v_add_f32_e32 v26, v168, v26
	v_fmac_f32_e32 v169, 0x3f763a35, v90
	v_fmac_f32_e32 v119, 0xbf763a35, v96
	v_mul_f32_e32 v205, 0x3ee437d1, v114
	v_add_f32_e32 v26, v169, v26
	v_fmac_f32_e32 v170, 0x3eb8f4ab, v92
	v_add_f32_e32 v118, v119, v118
	v_mov_b32_e32 v119, v205
	v_add_f32_e32 v26, v170, v26
	v_fmac_f32_e32 v171, 0xbf65296c, v94
	v_fmac_f32_e32 v119, 0xbf65296c, v98
	v_mul_f32_e32 v206, 0x3f6eb680, v115
	;; [unrolled: 8-line block ×3, first 2 shown]
	v_add_f32_e32 v26, v173, v26
	v_fmac_f32_e32 v174, 0x3f2c7751, v99
	v_add_f32_e32 v119, v119, v118
	v_mov_b32_e32 v118, v207
	v_mul_f32_e32 v208, 0xbf7ee86f, v101
	v_add_f32_e32 v27, v174, v26
	v_fma_f32 v26, v84, s21, -v175
	v_fmac_f32_e32 v118, 0x3f3d2fb0, v84
	v_mov_b32_e32 v209, v208
	v_add_f32_e32 v26, v61, v26
	v_fma_f32 v28, v85, s10, -v176
	v_add_f32_e32 v118, v61, v118
	v_fmac_f32_e32 v209, 0x3dbcf732, v85
	v_add_f32_e32 v26, v28, v26
	v_fma_f32 v28, v87, s20, -v177
	v_add_f32_e32 v118, v209, v118
	v_mul_f32_e32 v209, 0xbf4c4adb, v102
	v_add_f32_e32 v26, v28, v26
	v_fma_f32 v28, v89, s11, -v178
	v_mov_b32_e32 v210, v209
	v_add_f32_e32 v26, v28, v26
	v_fma_f32 v28, v91, s19, -v179
	v_fmac_f32_e32 v210, 0xbf1a4643, v87
	v_add_f32_e32 v26, v28, v26
	v_fma_f32 v28, v93, s16, -v180
	v_add_f32_e32 v118, v210, v118
	v_mul_f32_e32 v210, 0xbe3c28d5, v104
	v_add_f32_e32 v26, v28, v26
	v_fma_f32 v28, v95, s18, -v181
	v_mov_b32_e32 v211, v210
	v_add_f32_e32 v26, v28, v26
	v_fma_f32 v28, v97, s17, -v182
	v_fmac_f32_e32 v183, 0xbf65296c, v86
	v_fmac_f32_e32 v211, 0xbf7ba420, v89
	v_add_f32_e32 v26, v28, v26
	v_add_f32_e32 v28, v62, v183
	v_fmac_f32_e32 v184, 0xbf4c4adb, v88
	v_add_f32_e32 v118, v211, v118
	v_mul_f32_e32 v211, 0x3f06c442, v106
	v_add_f32_e32 v28, v184, v28
	v_fmac_f32_e32 v185, 0x3e3c28d5, v90
	v_mov_b32_e32 v212, v211
	v_add_f32_e32 v28, v185, v28
	v_fmac_f32_e32 v186, 0x3f763a35, v92
	v_fmac_f32_e32 v212, 0xbf59a7d5, v91
	v_add_f32_e32 v28, v186, v28
	v_fmac_f32_e32 v187, 0x3f2c7751, v94
	v_add_f32_e32 v118, v212, v118
	v_mul_f32_e32 v212, 0x3f763a35, v108
	v_add_f32_e32 v28, v187, v28
	v_fmac_f32_e32 v188, 0xbeb8f4ab, v96
	v_mov_b32_e32 v213, v212
	v_add_f32_e32 v28, v188, v28
	v_fmac_f32_e32 v189, 0xbf7ee86f, v98
	v_fmac_f32_e32 v213, 0xbe8c1d8e, v93
	v_add_f32_e32 v28, v189, v28
	v_fmac_f32_e32 v190, 0xbf06c442, v99
	v_add_f32_e32 v118, v213, v118
	v_mul_f32_e32 v213, 0x3f65296c, v110
	v_add_f32_e32 v29, v190, v28
	v_fma_f32 v28, v84, s19, -v191
	v_mov_b32_e32 v214, v213
	v_add_f32_e32 v28, v61, v28
	v_fma_f32 v30, v85, s18, -v192
	v_fmac_f32_e32 v214, 0x3ee437d1, v95
	v_add_f32_e32 v28, v30, v28
	v_fma_f32 v30, v87, s10, -v193
	v_add_f32_e32 v118, v214, v118
	v_mul_f32_e32 v214, 0x3eb8f4ab, v112
	v_add_f32_e32 v28, v30, v28
	v_fma_f32 v30, v89, s20, -v194
	v_mov_b32_e32 v215, v214
	v_add_f32_e32 v28, v30, v28
	v_fma_f32 v30, v91, s17, -v195
	v_fmac_f32_e32 v215, 0x3f6eb680, v97
	v_add_f32_e32 v28, v30, v28
	v_fma_f32 v30, v93, s11, -v196
	v_add_f32_e32 v118, v215, v118
	v_mul_f32_e32 v215, 0x3f6eb680, v103
	v_add_f32_e32 v28, v30, v28
	v_fma_f32 v30, v95, s21, -v197
	v_mov_b32_e32 v103, v215
	v_mul_f32_e32 v105, 0x3f3d2fb0, v105
	v_add_f32_e32 v28, v30, v28
	v_fma_f32 v30, v97, s16, -v198
	v_fmac_f32_e32 v199, 0xbf2c7751, v86
	v_fmac_f32_e32 v103, 0x3eb8f4ab, v86
	v_mov_b32_e32 v216, v105
	v_add_f32_e32 v28, v30, v28
	v_add_f32_e32 v30, v62, v199
	v_fmac_f32_e32 v200, 0xbf7ee86f, v88
	v_add_f32_e32 v103, v62, v103
	v_fmac_f32_e32 v216, 0x3f2c7751, v88
	v_mul_f32_e32 v107, 0x3ee437d1, v107
	v_add_f32_e32 v30, v200, v30
	v_fmac_f32_e32 v201, 0xbf4c4adb, v90
	v_add_f32_e32 v103, v216, v103
	v_mov_b32_e32 v216, v107
	v_add_f32_e32 v30, v201, v30
	v_fmac_f32_e32 v202, 0xbe3c28d5, v92
	v_fmac_f32_e32 v216, 0x3f65296c, v90
	v_mul_f32_e32 v109, 0x3dbcf732, v109
	v_add_f32_e32 v30, v202, v30
	v_fmac_f32_e32 v203, 0x3f06c442, v94
	v_add_f32_e32 v103, v216, v103
	v_mov_b32_e32 v216, v109
	v_add_f32_e32 v30, v203, v30
	v_fmac_f32_e32 v204, 0x3f763a35, v96
	v_fmac_f32_e32 v216, 0x3f7ee86f, v92
	v_mul_f32_e32 v111, 0xbe8c1d8e, v111
	v_add_f32_e32 v30, v204, v30
	v_fmac_f32_e32 v205, 0x3f65296c, v98
	v_add_f32_e32 v103, v216, v103
	v_mov_b32_e32 v216, v111
	v_add_f32_e32 v30, v205, v30
	v_fmac_f32_e32 v206, 0x3eb8f4ab, v99
	v_fmac_f32_e32 v216, 0x3f763a35, v94
	v_mul_f32_e32 v113, 0xbf1a4643, v113
	v_add_f32_e32 v31, v206, v30
	v_fma_f32 v30, v84, s17, -v207
	v_add_f32_e32 v103, v216, v103
	v_mov_b32_e32 v216, v113
	v_add_f32_e32 v30, v61, v30
	v_fma_f32 v32, v85, s21, -v208
	v_fmac_f32_e32 v216, 0x3f4c4adb, v96
	v_mul_f32_e32 v114, 0xbf59a7d5, v114
	v_add_f32_e32 v30, v32, v30
	v_fma_f32 v32, v87, s18, -v209
	v_add_f32_e32 v103, v216, v103
	v_mov_b32_e32 v216, v114
	v_add_f32_e32 v30, v32, v30
	v_fma_f32 v32, v89, s10, -v210
	;; [unrolled: 8-line block ×3, first 2 shown]
	v_fmac_f32_e32 v216, 0x3e3c28d5, v99
	v_mul_f32_e32 v100, 0xbeb8f4ab, v100
	v_add_f32_e32 v30, v32, v30
	v_fma_f32 v32, v95, s19, -v213
	v_add_f32_e32 v103, v216, v103
	v_mov_b32_e32 v216, v100
	v_mul_f32_e32 v101, 0xbf2c7751, v101
	v_add_f32_e32 v30, v32, v30
	v_fma_f32 v32, v97, s11, -v214
	v_fmac_f32_e32 v215, 0xbeb8f4ab, v86
	v_fmac_f32_e32 v216, 0x3f6eb680, v84
	v_mov_b32_e32 v217, v101
	v_add_f32_e32 v30, v32, v30
	v_add_f32_e32 v32, v62, v215
	v_fmac_f32_e32 v105, 0xbf2c7751, v88
	v_add_f32_e32 v216, v61, v216
	v_fmac_f32_e32 v217, 0x3f3d2fb0, v85
	;; [unrolled: 2-line block ×3, first 2 shown]
	v_add_f32_e32 v216, v217, v216
	v_mul_f32_e32 v217, 0xbf65296c, v102
	v_add_f32_e32 v32, v107, v32
	v_fmac_f32_e32 v109, 0xbf7ee86f, v92
	v_mov_b32_e32 v102, v217
	v_add_f32_e32 v32, v109, v32
	v_fmac_f32_e32 v111, 0xbf763a35, v94
	v_fmac_f32_e32 v102, 0x3ee437d1, v87
	v_mul_f32_e32 v104, 0xbf7ee86f, v104
	v_add_f32_e32 v32, v111, v32
	v_fmac_f32_e32 v113, 0xbf4c4adb, v96
	v_add_f32_e32 v102, v102, v216
	v_mov_b32_e32 v216, v104
	v_add_f32_e32 v32, v113, v32
	v_fmac_f32_e32 v114, 0xbf06c442, v98
	v_fmac_f32_e32 v216, 0x3dbcf732, v89
	v_mul_f32_e32 v106, 0xbf763a35, v106
	v_add_f32_e32 v32, v114, v32
	v_fmac_f32_e32 v115, 0xbe3c28d5, v99
	v_add_f32_e32 v102, v216, v102
	v_mov_b32_e32 v216, v106
	v_add_f32_e32 v33, v115, v32
	v_fma_f32 v32, v84, s11, -v100
	v_fmac_f32_e32 v216, 0xbe8c1d8e, v91
	v_mul_f32_e32 v108, 0xbf4c4adb, v108
	v_add_f32_e32 v32, v61, v32
	v_fma_f32 v34, v85, s17, -v101
	v_add_f32_e32 v102, v216, v102
	v_mov_b32_e32 v216, v108
	v_add_f32_e32 v32, v34, v32
	v_fma_f32 v34, v87, s19, -v217
	v_fmac_f32_e32 v216, 0xbf1a4643, v93
	v_mul_f32_e32 v110, 0xbf06c442, v110
	v_add_f32_e32 v32, v34, v32
	v_fma_f32 v34, v89, s21, -v104
	;; [unrolled: 8-line block ×3, first 2 shown]
	v_add_f32_e32 v102, v216, v102
	v_mov_b32_e32 v216, v112
	v_add_f32_e32 v32, v34, v32
	v_fma_f32 v34, v95, s16, -v110
	v_fmac_f32_e32 v216, 0xbf7ba420, v97
	v_add_f32_e32 v32, v34, v32
	v_fma_f32 v34, v97, s10, -v112
	v_add_f32_e32 v102, v216, v102
	v_add_f32_e32 v32, v34, v32
	v_lshl_add_u32 v34, v218, 3, v75
	ds_write2_b64 v34, v[0:1], v[102:103] offset1:1
	ds_write2_b64 v34, v[118:119], v[116:117] offset0:2 offset1:3
	ds_write2_b64 v34, v[71:72], v[69:70] offset0:4 offset1:5
	;; [unrolled: 1-line block ×7, first 2 shown]
	ds_write_b64 v34, v[32:33] offset:128
.LBB0_17:
	s_or_b64 exec, exec, s[8:9]
	s_waitcnt lgkmcnt(0)
	s_barrier
	ds_read2_b64 v[20:23], v78 offset1:34
	ds_read2_b64 v[28:31], v78 offset0:153 offset1:187
	ds_read2_b64 v[0:3], v78 offset0:68 offset1:102
	ds_read2_b64 v[24:27], v78 offset0:221 offset1:255
	s_and_saveexec_b64 s[8:9], s[2:3]
	s_cbranch_execz .LBB0_19
; %bb.18:
	ds_read_b64 v[63:64], v78 offset:1088
	ds_read_b64 v[65:66], v78 offset:2312
.LBB0_19:
	s_or_b64 exec, exec, s[8:9]
	s_waitcnt lgkmcnt(2)
	v_mul_f32_e32 v32, v60, v29
	v_fmac_f32_e32 v32, v59, v28
	v_mul_f32_e32 v28, v60, v28
	v_fma_f32 v28, v59, v29, -v28
	v_mul_f32_e32 v29, v58, v31
	v_fmac_f32_e32 v29, v57, v30
	v_mul_f32_e32 v30, v58, v30
	v_fma_f32 v30, v57, v31, -v30
	s_waitcnt lgkmcnt(0)
	v_mul_f32_e32 v31, v56, v25
	v_fmac_f32_e32 v31, v55, v24
	v_mul_f32_e32 v24, v56, v24
	v_fma_f32 v33, v55, v25, -v24
	v_mul_f32_e32 v34, v54, v27
	v_mul_f32_e32 v24, v54, v26
	v_fmac_f32_e32 v34, v53, v26
	v_fma_f32 v35, v53, v27, -v24
	v_sub_f32_e32 v24, v20, v32
	v_sub_f32_e32 v25, v21, v28
	v_fma_f32 v20, v20, 2.0, -v24
	v_fma_f32 v21, v21, 2.0, -v25
	v_sub_f32_e32 v26, v22, v29
	v_sub_f32_e32 v27, v23, v30
	;; [unrolled: 1-line block ×6, first 2 shown]
	v_fma_f32 v22, v22, 2.0, -v26
	v_fma_f32 v23, v23, 2.0, -v27
	;; [unrolled: 1-line block ×6, first 2 shown]
	s_barrier
	ds_write2_b64 v80, v[20:21], v[24:25] offset1:17
	ds_write2_b64 v81, v[22:23], v[26:27] offset1:17
	;; [unrolled: 1-line block ×4, first 2 shown]
	s_and_saveexec_b64 s[8:9], s[2:3]
	s_cbranch_execz .LBB0_21
; %bb.20:
	v_mul_f32_e32 v0, v52, v65
	v_fma_f32 v0, v51, v66, -v0
	v_sub_f32_e32 v1, v64, v0
	v_mul_f32_e32 v0, v52, v66
	v_fmac_f32_e32 v0, v51, v65
	v_and_b32_e32 v20, 0xff, v79
	v_sub_f32_e32 v0, v63, v0
	v_lshl_add_u32 v20, v20, 3, v75
	v_fma_f32 v3, v64, 2.0, -v1
	v_fma_f32 v2, v63, 2.0, -v0
	v_add_u32_e32 v20, 0x800, v20
	ds_write2_b64 v20, v[2:3], v[0:1] offset0:16 offset1:33
.LBB0_21:
	s_or_b64 exec, exec, s[8:9]
	s_waitcnt lgkmcnt(0)
	s_barrier
	ds_read2_b64 v[0:3], v78 offset1:34
	ds_read2_b64 v[20:23], v78 offset0:68 offset1:102
	ds_read2_b64 v[24:27], v78 offset0:136 offset1:170
	;; [unrolled: 1-line block ×3, first 2 shown]
	ds_read_b64 v[32:33], v78 offset:2176
	s_waitcnt lgkmcnt(4)
	v_mul_f32_e32 v34, v17, v3
	v_fmac_f32_e32 v34, v16, v2
	v_mul_f32_e32 v2, v17, v2
	v_fma_f32 v2, v16, v3, -v2
	s_waitcnt lgkmcnt(3)
	v_mul_f32_e32 v3, v19, v21
	v_mul_f32_e32 v16, v19, v20
	v_mul_f32_e32 v17, v13, v23
	v_mul_f32_e32 v13, v13, v22
	v_fmac_f32_e32 v3, v18, v20
	v_fma_f32 v16, v18, v21, -v16
	v_fmac_f32_e32 v17, v12, v22
	v_fma_f32 v12, v12, v23, -v13
	s_waitcnt lgkmcnt(2)
	v_mul_f32_e32 v18, v15, v25
	v_mul_f32_e32 v13, v15, v24
	;; [unrolled: 1-line block ×4, first 2 shown]
	v_fmac_f32_e32 v15, v8, v26
	v_fma_f32 v19, v8, v27, -v9
	s_waitcnt lgkmcnt(1)
	v_mul_f32_e32 v8, v11, v29
	v_mul_f32_e32 v9, v11, v28
	v_fmac_f32_e32 v8, v10, v28
	v_fma_f32 v9, v10, v29, -v9
	v_mul_f32_e32 v10, v5, v31
	v_mul_f32_e32 v5, v5, v30
	v_fmac_f32_e32 v10, v4, v30
	v_fma_f32 v4, v4, v31, -v5
	s_waitcnt lgkmcnt(0)
	v_mul_f32_e32 v5, v7, v33
	v_fmac_f32_e32 v5, v6, v32
	v_fmac_f32_e32 v18, v14, v24
	v_sub_f32_e32 v26, v34, v5
	v_add_f32_e32 v20, v34, v5
	v_sub_f32_e32 v28, v3, v10
	v_mul_f32_e32 v5, 0x3f248dbb, v26
	v_sub_f32_e32 v30, v18, v15
	v_fma_f32 v14, v14, v25, -v13
	v_add_f32_e32 v24, v17, v8
	v_add_f32_e32 v25, v12, v9
	v_sub_f32_e32 v17, v17, v8
	v_sub_f32_e32 v29, v12, v9
	v_fmac_f32_e32 v5, 0x3f7c1c5c, v28
	v_mul_f32_e32 v9, 0xbf248dbb, v30
	v_mul_f32_e32 v7, v7, v32
	v_fmac_f32_e32 v5, 0x3f5db3d7, v17
	v_fmac_f32_e32 v9, 0x3f7c1c5c, v26
	v_fma_f32 v6, v6, v33, -v7
	v_add_f32_e32 v22, v3, v10
	v_fmac_f32_e32 v5, 0x3eaf1d44, v30
	s_mov_b32 s2, 0xbf248dbb
	v_fmac_f32_e32 v9, 0xbf5db3d7, v17
	v_add_f32_e32 v10, v30, v26
	v_mul_f32_e32 v30, 0x3f7c1c5c, v30
	v_add_f32_e32 v21, v2, v6
	v_add_f32_e32 v23, v16, v4
	v_fmac_f32_e32 v9, 0x3eaf1d44, v28
	v_sub_f32_e32 v12, v10, v28
	v_fma_f32 v28, v28, s2, -v30
	v_sub_f32_e32 v27, v2, v6
	v_add_f32_e32 v36, v22, v20
	v_add_f32_e32 v37, v23, v21
	v_fmac_f32_e32 v28, 0x3f5db3d7, v17
	v_sub_f32_e32 v16, v16, v4
	v_mul_f32_e32 v4, 0x3f248dbb, v27
	v_sub_f32_e32 v31, v14, v19
	v_fmac_f32_e32 v28, 0x3eaf1d44, v26
	v_add_f32_e32 v17, v24, v36
	v_add_f32_e32 v26, v25, v37
	v_fmac_f32_e32 v4, 0x3f7c1c5c, v16
	v_add_f32_e32 v33, v14, v19
	v_mul_f32_e32 v8, 0xbf248dbb, v31
	v_add_f32_e32 v17, v18, v17
	v_add_f32_e32 v14, v14, v26
	v_fmac_f32_e32 v4, 0x3f5db3d7, v29
	v_mov_b32_e32 v2, v0
	v_mov_b32_e32 v3, v1
	v_add_f32_e32 v32, v18, v15
	v_fmac_f32_e32 v8, 0x3f7c1c5c, v27
	v_add_f32_e32 v11, v31, v27
	v_add_f32_e32 v15, v15, v17
	;; [unrolled: 1-line block ×3, first 2 shown]
	v_fmac_f32_e32 v4, 0x3eaf1d44, v31
	v_fmac_f32_e32 v2, 0x3f441b7d, v20
	;; [unrolled: 1-line block ×4, first 2 shown]
	v_mov_b32_e32 v6, v0
	v_mov_b32_e32 v7, v1
	v_sub_f32_e32 v13, v11, v16
	v_add_f32_e32 v10, v24, v0
	v_add_f32_e32 v11, v25, v1
	v_mul_f32_e32 v31, 0x3f7c1c5c, v31
	v_add_f32_e32 v14, v15, v0
	v_add_f32_e32 v15, v17, v1
	v_fmac_f32_e32 v0, 0x3f441b7d, v22
	v_fmac_f32_e32 v1, 0x3f441b7d, v23
	;; [unrolled: 1-line block ×7, first 2 shown]
	v_fma_f32 v16, v16, s2, -v31
	v_fmac_f32_e32 v0, 0x3e31d0d4, v32
	v_fmac_f32_e32 v1, 0x3e31d0d4, v33
	v_fmac_f32_e32 v2, -0.5, v24
	v_fmac_f32_e32 v3, -0.5, v25
	v_fmac_f32_e32 v6, 0x3e31d0d4, v20
	v_fmac_f32_e32 v7, 0x3e31d0d4, v21
	;; [unrolled: 1-line block ×3, first 2 shown]
	v_fmac_f32_e32 v0, -0.5, v24
	v_fmac_f32_e32 v1, -0.5, v25
	v_fmac_f32_e32 v2, 0xbf708fb2, v32
	v_fmac_f32_e32 v3, 0xbf708fb2, v33
	v_fmac_f32_e32 v6, -0.5, v24
	v_fmac_f32_e32 v7, -0.5, v25
	v_add_f32_e32 v38, v32, v36
	v_add_f32_e32 v39, v33, v37
	v_fmac_f32_e32 v16, 0x3eaf1d44, v27
	v_fmac_f32_e32 v0, 0xbf708fb2, v20
	v_fmac_f32_e32 v1, 0xbf708fb2, v21
	v_sub_f32_e32 v2, v2, v4
	v_add_f32_e32 v3, v5, v3
	v_fmac_f32_e32 v6, 0xbf708fb2, v22
	v_fmac_f32_e32 v7, 0xbf708fb2, v23
	v_fmac_f32_e32 v10, -0.5, v38
	v_fmac_f32_e32 v11, -0.5, v39
	v_sub_f32_e32 v0, v0, v16
	v_add_f32_e32 v1, v28, v1
	v_fma_f32 v4, 2.0, v4, v2
	v_fma_f32 v5, -2.0, v5, v3
	v_sub_f32_e32 v6, v6, v8
	v_add_f32_e32 v7, v9, v7
	v_mul_f32_e32 v34, 0x3f5db3d7, v12
	v_mul_f32_e32 v35, 0x3f5db3d7, v13
	v_fmac_f32_e32 v10, 0xbf5db3d7, v13
	v_fmac_f32_e32 v11, 0x3f5db3d7, v12
	ds_write_b64 v77, v[14:15]
	ds_write2_b64 v77, v[2:3], v[6:7] offset0:34 offset1:68
	v_mov_b32_e32 v3, v1
	v_mov_b32_e32 v2, v0
	v_fma_f32 v8, 2.0, v8, v6
	v_fma_f32 v9, -2.0, v9, v7
	v_fma_f32 v12, 2.0, v35, v10
	v_fma_f32 v13, -2.0, v34, v11
	v_fmac_f32_e32 v3, -2.0, v28
	v_fmac_f32_e32 v2, 2.0, v16
	ds_write2_b64 v77, v[10:11], v[0:1] offset0:102 offset1:136
	ds_write2_b64 v77, v[2:3], v[12:13] offset0:170 offset1:204
	v_add_u32_e32 v0, 0x400, v77
	ds_write2_b64 v0, v[8:9], v[4:5] offset0:110 offset1:144
	s_waitcnt lgkmcnt(0)
	s_barrier
	s_and_b64 exec, exec, s[0:1]
	s_cbranch_execz .LBB0_23
; %bb.22:
	global_load_dwordx2 v[0:1], v74, s[12:13]
	ds_read_b64 v[4:5], v77
	v_mad_u64_u32 v[2:3], s[0:1], s6, v40, 0
	v_mad_u64_u32 v[6:7], s[0:1], s4, v73, 0
	s_waitcnt lgkmcnt(0)
	v_mad_u64_u32 v[8:9], s[2:3], s7, v40, v[3:4]
	s_mov_b32 s0, 0x1ac5701b
	s_mov_b32 s1, 0x3f6ac570
	v_mad_u64_u32 v[9:10], s[2:3], s5, v73, v[7:8]
	v_mov_b32_e32 v11, s15
	s_mul_i32 s3, s5, 0x90
	v_mov_b32_e32 v7, v9
	v_lshlrev_b64 v[6:7], 3, v[6:7]
	s_mul_hi_u32 s6, s4, 0x90
	s_mul_i32 s2, s4, 0x90
	s_add_i32 s3, s6, s3
	s_waitcnt vmcnt(0)
	v_mul_f32_e32 v3, v5, v1
	v_mul_f32_e32 v1, v4, v1
	v_fmac_f32_e32 v3, v4, v0
	v_fma_f32 v4, v0, v5, -v1
	v_cvt_f64_f32_e32 v[0:1], v3
	v_cvt_f64_f32_e32 v[4:5], v4
	v_mov_b32_e32 v3, v8
	v_lshlrev_b64 v[2:3], 3, v[2:3]
	v_mul_f64 v[0:1], v[0:1], s[0:1]
	v_mul_f64 v[4:5], v[4:5], s[0:1]
	v_add_co_u32_e32 v8, vcc, s14, v2
	v_addc_co_u32_e32 v9, vcc, v11, v3, vcc
	v_cvt_f32_f64_e32 v0, v[0:1]
	v_cvt_f32_f64_e32 v1, v[4:5]
	v_add_co_u32_e32 v4, vcc, v8, v6
	v_addc_co_u32_e32 v5, vcc, v9, v7, vcc
	global_store_dwordx2 v[4:5], v[0:1], off
	global_load_dwordx2 v[6:7], v74, s[12:13] offset:144
	ds_read2_b64 v[0:3], v77 offset0:18 offset1:36
	v_add_co_u32_e32 v4, vcc, s2, v4
	s_waitcnt vmcnt(0) lgkmcnt(0)
	v_mul_f32_e32 v10, v1, v7
	v_mul_f32_e32 v7, v0, v7
	v_fmac_f32_e32 v10, v0, v6
	v_fma_f32 v6, v6, v1, -v7
	v_cvt_f64_f32_e32 v[0:1], v10
	v_cvt_f64_f32_e32 v[6:7], v6
	v_mov_b32_e32 v10, s3
	v_addc_co_u32_e32 v5, vcc, v5, v10, vcc
	v_mul_f64 v[0:1], v[0:1], s[0:1]
	v_mul_f64 v[6:7], v[6:7], s[0:1]
	v_cvt_f32_f64_e32 v0, v[0:1]
	v_cvt_f32_f64_e32 v1, v[6:7]
	global_store_dwordx2 v[4:5], v[0:1], off
	global_load_dwordx2 v[0:1], v74, s[12:13] offset:288
	v_add_co_u32_e32 v4, vcc, s2, v4
	s_waitcnt vmcnt(0)
	v_mul_f32_e32 v6, v3, v1
	v_mul_f32_e32 v1, v2, v1
	v_fmac_f32_e32 v6, v2, v0
	v_fma_f32 v2, v0, v3, -v1
	v_cvt_f64_f32_e32 v[0:1], v6
	v_cvt_f64_f32_e32 v[2:3], v2
	v_mov_b32_e32 v6, s3
	v_addc_co_u32_e32 v5, vcc, v5, v6, vcc
	v_mul_f64 v[0:1], v[0:1], s[0:1]
	v_mul_f64 v[2:3], v[2:3], s[0:1]
	v_cvt_f32_f64_e32 v0, v[0:1]
	v_cvt_f32_f64_e32 v1, v[2:3]
	global_store_dwordx2 v[4:5], v[0:1], off
	global_load_dwordx2 v[6:7], v74, s[12:13] offset:432
	ds_read2_b64 v[0:3], v77 offset0:54 offset1:72
	v_add_co_u32_e32 v4, vcc, s2, v4
	s_waitcnt vmcnt(0) lgkmcnt(0)
	v_mul_f32_e32 v10, v1, v7
	v_mul_f32_e32 v7, v0, v7
	v_fmac_f32_e32 v10, v0, v6
	v_fma_f32 v6, v6, v1, -v7
	v_cvt_f64_f32_e32 v[0:1], v10
	v_cvt_f64_f32_e32 v[6:7], v6
	v_mov_b32_e32 v10, s3
	v_addc_co_u32_e32 v5, vcc, v5, v10, vcc
	v_mul_f64 v[0:1], v[0:1], s[0:1]
	v_mul_f64 v[6:7], v[6:7], s[0:1]
	v_cvt_f32_f64_e32 v0, v[0:1]
	v_cvt_f32_f64_e32 v1, v[6:7]
	global_store_dwordx2 v[4:5], v[0:1], off
	global_load_dwordx2 v[0:1], v74, s[12:13] offset:576
	v_add_co_u32_e32 v4, vcc, s2, v4
	s_waitcnt vmcnt(0)
	v_mul_f32_e32 v6, v3, v1
	v_mul_f32_e32 v1, v2, v1
	v_fmac_f32_e32 v6, v2, v0
	v_fma_f32 v2, v0, v3, -v1
	v_cvt_f64_f32_e32 v[0:1], v6
	v_cvt_f64_f32_e32 v[2:3], v2
	v_mov_b32_e32 v6, s3
	v_addc_co_u32_e32 v5, vcc, v5, v6, vcc
	v_mul_f64 v[0:1], v[0:1], s[0:1]
	v_mul_f64 v[2:3], v[2:3], s[0:1]
	v_cvt_f32_f64_e32 v0, v[0:1]
	v_cvt_f32_f64_e32 v1, v[2:3]
	;; [unrolled: 33-line block ×7, first 2 shown]
	global_store_dwordx2 v[4:5], v[0:1], off
	global_load_dwordx2 v[6:7], v74, s[12:13] offset:2160
	v_add_u32_e32 v0, 0x800, v77
	ds_read2_b64 v[0:3], v0 offset0:14 offset1:32
	v_add_co_u32_e32 v4, vcc, s2, v4
	s_waitcnt vmcnt(0) lgkmcnt(0)
	v_mul_f32_e32 v10, v1, v7
	v_mul_f32_e32 v7, v0, v7
	v_fmac_f32_e32 v10, v0, v6
	v_fma_f32 v6, v6, v1, -v7
	v_cvt_f64_f32_e32 v[0:1], v10
	v_cvt_f64_f32_e32 v[6:7], v6
	v_mov_b32_e32 v10, s3
	v_addc_co_u32_e32 v5, vcc, v5, v10, vcc
	v_mul_f64 v[0:1], v[0:1], s[0:1]
	v_mul_f64 v[6:7], v[6:7], s[0:1]
	v_cvt_f32_f64_e32 v0, v[0:1]
	v_cvt_f32_f64_e32 v1, v[6:7]
	v_or_b32_e32 v6, 0x120, v73
	global_store_dwordx2 v[4:5], v[0:1], off
	global_load_dwordx2 v[0:1], v74, s[12:13] offset:2304
	v_mad_u64_u32 v[4:5], s[2:3], s4, v6, 0
	s_waitcnt vmcnt(0)
	v_mul_f32_e32 v7, v3, v1
	v_mul_f32_e32 v1, v2, v1
	v_fmac_f32_e32 v7, v2, v0
	v_fma_f32 v2, v0, v3, -v1
	v_cvt_f64_f32_e32 v[0:1], v7
	v_cvt_f64_f32_e32 v[2:3], v2
	v_mul_f64 v[0:1], v[0:1], s[0:1]
	v_mul_f64 v[2:3], v[2:3], s[0:1]
	v_mad_u64_u32 v[5:6], s[0:1], s5, v6, v[5:6]
	v_lshlrev_b64 v[4:5], 3, v[4:5]
	v_cvt_f32_f64_e32 v0, v[0:1]
	v_cvt_f32_f64_e32 v1, v[2:3]
	v_add_co_u32_e32 v2, vcc, v8, v4
	v_addc_co_u32_e32 v3, vcc, v9, v5, vcc
	global_store_dwordx2 v[2:3], v[0:1], off
.LBB0_23:
	s_endpgm
	.section	.rodata,"a",@progbits
	.p2align	6, 0x0
	.amdhsa_kernel bluestein_single_back_len306_dim1_sp_op_CI_CI
		.amdhsa_group_segment_fixed_size 17136
		.amdhsa_private_segment_fixed_size 8
		.amdhsa_kernarg_size 104
		.amdhsa_user_sgpr_count 6
		.amdhsa_user_sgpr_private_segment_buffer 1
		.amdhsa_user_sgpr_dispatch_ptr 0
		.amdhsa_user_sgpr_queue_ptr 0
		.amdhsa_user_sgpr_kernarg_segment_ptr 1
		.amdhsa_user_sgpr_dispatch_id 0
		.amdhsa_user_sgpr_flat_scratch_init 0
		.amdhsa_user_sgpr_private_segment_size 0
		.amdhsa_uses_dynamic_stack 0
		.amdhsa_system_sgpr_private_segment_wavefront_offset 1
		.amdhsa_system_sgpr_workgroup_id_x 1
		.amdhsa_system_sgpr_workgroup_id_y 0
		.amdhsa_system_sgpr_workgroup_id_z 0
		.amdhsa_system_sgpr_workgroup_info 0
		.amdhsa_system_vgpr_workitem_id 0
		.amdhsa_next_free_vgpr 256
		.amdhsa_next_free_sgpr 28
		.amdhsa_reserve_vcc 1
		.amdhsa_reserve_flat_scratch 0
		.amdhsa_float_round_mode_32 0
		.amdhsa_float_round_mode_16_64 0
		.amdhsa_float_denorm_mode_32 3
		.amdhsa_float_denorm_mode_16_64 3
		.amdhsa_dx10_clamp 1
		.amdhsa_ieee_mode 1
		.amdhsa_fp16_overflow 0
		.amdhsa_exception_fp_ieee_invalid_op 0
		.amdhsa_exception_fp_denorm_src 0
		.amdhsa_exception_fp_ieee_div_zero 0
		.amdhsa_exception_fp_ieee_overflow 0
		.amdhsa_exception_fp_ieee_underflow 0
		.amdhsa_exception_fp_ieee_inexact 0
		.amdhsa_exception_int_div_zero 0
	.end_amdhsa_kernel
	.text
.Lfunc_end0:
	.size	bluestein_single_back_len306_dim1_sp_op_CI_CI, .Lfunc_end0-bluestein_single_back_len306_dim1_sp_op_CI_CI
                                        ; -- End function
	.section	.AMDGPU.csdata,"",@progbits
; Kernel info:
; codeLenInByte = 17264
; NumSgprs: 32
; NumVgprs: 256
; ScratchSize: 8
; MemoryBound: 0
; FloatMode: 240
; IeeeMode: 1
; LDSByteSize: 17136 bytes/workgroup (compile time only)
; SGPRBlocks: 3
; VGPRBlocks: 63
; NumSGPRsForWavesPerEU: 32
; NumVGPRsForWavesPerEU: 256
; Occupancy: 1
; WaveLimiterHint : 1
; COMPUTE_PGM_RSRC2:SCRATCH_EN: 1
; COMPUTE_PGM_RSRC2:USER_SGPR: 6
; COMPUTE_PGM_RSRC2:TRAP_HANDLER: 0
; COMPUTE_PGM_RSRC2:TGID_X_EN: 1
; COMPUTE_PGM_RSRC2:TGID_Y_EN: 0
; COMPUTE_PGM_RSRC2:TGID_Z_EN: 0
; COMPUTE_PGM_RSRC2:TIDIG_COMP_CNT: 0
	.type	__hip_cuid_f7d04ae2fdaaa59c,@object ; @__hip_cuid_f7d04ae2fdaaa59c
	.section	.bss,"aw",@nobits
	.globl	__hip_cuid_f7d04ae2fdaaa59c
__hip_cuid_f7d04ae2fdaaa59c:
	.byte	0                               ; 0x0
	.size	__hip_cuid_f7d04ae2fdaaa59c, 1

	.ident	"AMD clang version 19.0.0git (https://github.com/RadeonOpenCompute/llvm-project roc-6.4.0 25133 c7fe45cf4b819c5991fe208aaa96edf142730f1d)"
	.section	".note.GNU-stack","",@progbits
	.addrsig
	.addrsig_sym __hip_cuid_f7d04ae2fdaaa59c
	.amdgpu_metadata
---
amdhsa.kernels:
  - .args:
      - .actual_access:  read_only
        .address_space:  global
        .offset:         0
        .size:           8
        .value_kind:     global_buffer
      - .actual_access:  read_only
        .address_space:  global
        .offset:         8
        .size:           8
        .value_kind:     global_buffer
      - .actual_access:  read_only
        .address_space:  global
        .offset:         16
        .size:           8
        .value_kind:     global_buffer
      - .actual_access:  read_only
        .address_space:  global
        .offset:         24
        .size:           8
        .value_kind:     global_buffer
      - .actual_access:  read_only
        .address_space:  global
        .offset:         32
        .size:           8
        .value_kind:     global_buffer
      - .offset:         40
        .size:           8
        .value_kind:     by_value
      - .address_space:  global
        .offset:         48
        .size:           8
        .value_kind:     global_buffer
      - .address_space:  global
        .offset:         56
        .size:           8
        .value_kind:     global_buffer
      - .address_space:  global
        .offset:         64
        .size:           8
        .value_kind:     global_buffer
      - .address_space:  global
        .offset:         72
        .size:           8
        .value_kind:     global_buffer
      - .offset:         80
        .size:           4
        .value_kind:     by_value
      - .address_space:  global
        .offset:         88
        .size:           8
        .value_kind:     global_buffer
      - .address_space:  global
        .offset:         96
        .size:           8
        .value_kind:     global_buffer
    .group_segment_fixed_size: 17136
    .kernarg_segment_align: 8
    .kernarg_segment_size: 104
    .language:       OpenCL C
    .language_version:
      - 2
      - 0
    .max_flat_workgroup_size: 238
    .name:           bluestein_single_back_len306_dim1_sp_op_CI_CI
    .private_segment_fixed_size: 8
    .sgpr_count:     32
    .sgpr_spill_count: 0
    .symbol:         bluestein_single_back_len306_dim1_sp_op_CI_CI.kd
    .uniform_work_group_size: 1
    .uses_dynamic_stack: false
    .vgpr_count:     256
    .vgpr_spill_count: 1
    .wavefront_size: 64
amdhsa.target:   amdgcn-amd-amdhsa--gfx906
amdhsa.version:
  - 1
  - 2
...

	.end_amdgpu_metadata
